;; amdgpu-corpus repo=ROCm/rocFFT kind=compiled arch=gfx950 opt=O3
	.text
	.amdgcn_target "amdgcn-amd-amdhsa--gfx950"
	.amdhsa_code_object_version 6
	.protected	bluestein_single_fwd_len1470_dim1_sp_op_CI_CI ; -- Begin function bluestein_single_fwd_len1470_dim1_sp_op_CI_CI
	.globl	bluestein_single_fwd_len1470_dim1_sp_op_CI_CI
	.p2align	8
	.type	bluestein_single_fwd_len1470_dim1_sp_op_CI_CI,@function
bluestein_single_fwd_len1470_dim1_sp_op_CI_CI: ; @bluestein_single_fwd_len1470_dim1_sp_op_CI_CI
; %bb.0:
	s_load_dwordx4 s[8:11], s[0:1], 0x28
	v_mul_u32_u24_e32 v1, 0x139, v0
	v_mov_b32_e32 v65, 0
	v_add_u32_sdwa v70, s2, v1 dst_sel:DWORD dst_unused:UNUSED_PAD src0_sel:DWORD src1_sel:WORD_1
	v_mov_b32_e32 v71, v65
	s_waitcnt lgkmcnt(0)
	v_cmp_gt_u64_e32 vcc, s[8:9], v[70:71]
	s_and_saveexec_b64 s[2:3], vcc
	s_cbranch_execz .LBB0_31
; %bb.1:
	s_load_dwordx4 s[4:7], s[0:1], 0x18
	s_load_dwordx2 s[16:17], s[0:1], 0x0
	v_mov_b32_e32 v2, s10
	v_mov_b32_e32 v3, s11
	s_movk_i32 s2, 0xd2
	s_waitcnt lgkmcnt(0)
	s_load_dwordx4 s[8:11], s[4:5], 0x0
	v_mul_lo_u16_sdwa v1, v1, s2 dst_sel:DWORD dst_unused:UNUSED_PAD src0_sel:WORD_1 src1_sel:DWORD
	v_sub_u16_e32 v64, v0, v1
	v_lshlrev_b32_e32 v60, 3, v64
	v_mov_b32_e32 v61, v65
	s_waitcnt lgkmcnt(0)
	v_mad_u64_u32 v[0:1], s[2:3], s10, v70, 0
	v_mov_b32_e32 v4, v1
	v_mad_u64_u32 v[4:5], s[2:3], s11, v70, v[4:5]
	v_mov_b32_e32 v1, v4
	v_mad_u64_u32 v[4:5], s[2:3], s8, v64, 0
	v_mov_b32_e32 v6, v5
	v_mad_u64_u32 v[6:7], s[2:3], s9, v64, v[6:7]
	s_mul_i32 s2, s9, 0x2df
	s_mul_hi_u32 s3, s8, 0x2df
	v_mov_b32_e32 v5, v6
	v_lshl_add_u64 v[0:1], v[0:1], 3, v[2:3]
	s_add_i32 s3, s3, s2
	s_mul_i32 s2, s8, 0x2df
	v_lshl_add_u64 v[0:1], v[4:5], 3, v[0:1]
	v_lshl_add_u64 v[62:63], s[16:17], 0, v[60:61]
	s_lshl_b64 s[10:11], s[2:3], 3
	s_movk_i32 s4, 0x1000
	s_mul_hi_u32 s5, s8, 0xfffffdf3
	v_lshl_add_u64 v[2:3], v[0:1], 0, s[10:11]
	global_load_dwordx2 v[4:5], v[0:1], off
	global_load_dwordx2 v[6:7], v[2:3], off
	v_add_co_u32_e32 v0, vcc, s4, v62
	s_mul_i32 s4, s9, 0xfffffdf3
	s_sub_i32 s5, s5, s8
	s_add_i32 s5, s5, s4
	s_mul_i32 s4, s8, 0xfffffdf3
	s_lshl_b64 s[8:9], s[4:5], 3
	v_addc_co_u32_e32 v1, vcc, 0, v63, vcc
	v_lshl_add_u64 v[2:3], v[2:3], 0, s[8:9]
	global_load_dwordx2 v[76:77], v[0:1], off offset:1784
	global_load_dwordx2 v[78:79], v60, s[16:17]
	global_load_dwordx2 v[8:9], v[2:3], off
	global_load_dwordx2 v[74:75], v60, s[16:17] offset:1680
	v_lshl_add_u64 v[2:3], v[2:3], 0, s[10:11]
	global_load_dwordx2 v[72:73], v[0:1], off offset:3464
	v_lshl_add_u64 v[0:1], v[2:3], 0, s[8:9]
	s_movk_i32 s8, 0x2000
	global_load_dwordx2 v[10:11], v[2:3], off
	global_load_dwordx2 v[12:13], v[0:1], off
	global_load_dwordx2 v[66:67], v60, s[16:17] offset:3360
	v_add_co_u32_e32 v2, vcc, s8, v62
	v_lshl_add_u64 v[0:1], v[0:1], 0, s[10:11]
	s_nop 0
	v_addc_co_u32_e32 v3, vcc, 0, v63, vcc
	global_load_dwordx2 v[68:69], v[2:3], off offset:1048
	global_load_dwordx2 v[14:15], v[0:1], off
	s_load_dwordx2 s[10:11], s[0:1], 0x38
	s_load_dwordx4 s[12:15], s[6:7], 0x0
	s_movk_i32 s8, 0x69
	v_add_u32_e32 v16, 0x1d00, v60
	v_cmp_gt_u16_e64 s[8:9], s8, v64
	s_waitcnt vmcnt(8)
	v_mul_f32_e32 v2, v5, v79
	v_mul_f32_e32 v3, v4, v79
	v_fmac_f32_e32 v2, v4, v78
	v_fma_f32 v3, v5, v78, -v3
	v_mul_f32_e32 v4, v7, v77
	v_mul_f32_e32 v5, v6, v77
	v_fmac_f32_e32 v4, v6, v76
	v_fma_f32 v5, v7, v76, -v5
	s_waitcnt vmcnt(6)
	v_mul_f32_e32 v6, v9, v75
	v_mul_f32_e32 v7, v8, v75
	v_fmac_f32_e32 v6, v8, v74
	v_fma_f32 v7, v9, v74, -v7
	ds_write_b64 v60, v[4:5] offset:5880
	s_waitcnt vmcnt(4)
	v_mul_f32_e32 v4, v11, v73
	v_mul_f32_e32 v5, v10, v73
	ds_write2_b64 v60, v[2:3], v[6:7] offset1:210
	s_waitcnt vmcnt(2)
	v_mul_f32_e32 v2, v13, v67
	v_mul_f32_e32 v3, v12, v67
	s_waitcnt vmcnt(0)
	v_mul_f32_e32 v6, v15, v69
	v_mul_f32_e32 v7, v14, v69
	v_fmac_f32_e32 v4, v10, v72
	v_fma_f32 v5, v11, v72, -v5
	v_fmac_f32_e32 v2, v12, v66
	v_fma_f32 v3, v13, v66, -v3
	;; [unrolled: 2-line block ×3, first 2 shown]
	ds_write_b64 v60, v[2:3] offset:3360
	ds_write2_b64 v16, v[4:5], v[6:7] offset0:17 offset1:227
	s_and_saveexec_b64 s[6:7], s[8:9]
	s_cbranch_execz .LBB0_3
; %bb.2:
	v_add_co_u32_e32 v4, vcc, 0x1000, v62
	v_lshl_add_u64 v[0:1], s[4:5], 3, v[0:1]
	s_nop 0
	v_addc_co_u32_e32 v5, vcc, 0, v63, vcc
	v_add_co_u32_e32 v6, vcc, 0x2000, v62
	global_load_dwordx2 v[2:3], v[0:1], off
	v_lshl_add_u64 v[0:1], s[2:3], 3, v[0:1]
	global_load_dwordx2 v[4:5], v[4:5], off offset:944
	v_addc_co_u32_e32 v7, vcc, 0, v63, vcc
	global_load_dwordx2 v[6:7], v[6:7], off offset:2728
	s_waitcnt vmcnt(1)
	v_mul_f32_e32 v8, v3, v5
	global_load_dwordx2 v[0:1], v[0:1], off
	v_mul_f32_e32 v5, v2, v5
	v_fmac_f32_e32 v8, v2, v4
	v_fma_f32 v9, v3, v4, -v5
	ds_write_b64 v60, v[8:9] offset:5040
	s_waitcnt vmcnt(0)
	v_mul_f32_e32 v2, v1, v7
	v_mul_f32_e32 v3, v0, v7
	v_fmac_f32_e32 v2, v0, v6
	v_fma_f32 v3, v1, v6, -v3
	ds_write_b64 v60, v[2:3] offset:10920
.LBB0_3:
	s_or_b64 exec, exec, s[6:7]
	v_add_u32_e32 v0, 0x1600, v60
	s_waitcnt lgkmcnt(0)
	s_barrier
	ds_read2_b64 v[4:7], v60 offset1:210
	ds_read2_b64 v[0:3], v0 offset0:31 offset1:241
	ds_read_b64 v[8:9], v60 offset:3360
	ds_read_b64 v[12:13], v60 offset:9240
                                        ; implicit-def: $vgpr10
                                        ; implicit-def: $vgpr14
	s_and_saveexec_b64 s[2:3], s[8:9]
	s_cbranch_execz .LBB0_5
; %bb.4:
	ds_read_b64 v[10:11], v60 offset:5040
	ds_read_b64 v[14:15], v60 offset:10920
.LBB0_5:
	s_or_b64 exec, exec, s[2:3]
	s_load_dwordx2 s[0:1], s[0:1], 0x8
	s_mov_b64 s[2:3], 0xd2
	v_lshl_add_u64 v[22:23], v[64:65], 0, s[2:3]
	s_mov_b64 s[2:3], 0x1a4
	s_waitcnt lgkmcnt(0)
	v_pk_add_f32 v[18:19], v[6:7], v[2:3] neg_lo:[0,1] neg_hi:[0,1]
	v_pk_add_f32 v[2:3], v[10:11], v[14:15] neg_lo:[0,1] neg_hi:[0,1]
	v_lshl_add_u64 v[24:25], v[64:65], 0, s[2:3]
	s_mov_b64 s[2:3], 0x276
	v_pk_add_f32 v[16:17], v[4:5], v[0:1] neg_lo:[0,1] neg_hi:[0,1]
	v_pk_fma_f32 v[0:1], v[10:11], 2.0, v[2:3] op_sel_hi:[1,0,1] neg_lo:[0,0,1] neg_hi:[0,0,1]
	v_lshlrev_b16_e32 v10, 1, v64
	v_lshl_add_u64 v[20:21], v[64:65], 0, s[2:3]
	v_pk_add_f32 v[12:13], v[8:9], v[12:13] neg_lo:[0,1] neg_hi:[0,1]
	v_lshlrev_b32_e32 v71, 3, v10
	v_pk_fma_f32 v[14:15], v[4:5], 2.0, v[16:17] op_sel_hi:[1,0,1] neg_lo:[0,0,1] neg_hi:[0,0,1]
	s_barrier
	ds_write_b128 v71, v[14:17]
	v_lshlrev_b32_e32 v84, 4, v22
	v_pk_fma_f32 v[16:17], v[6:7], 2.0, v[18:19] op_sel_hi:[1,0,1] neg_lo:[0,0,1] neg_hi:[0,0,1]
	v_lshlrev_b32_e32 v85, 4, v24
	v_pk_fma_f32 v[10:11], v[8:9], 2.0, v[12:13] op_sel_hi:[1,0,1] neg_lo:[0,0,1] neg_hi:[0,0,1]
	v_lshlrev_b32_e32 v65, 4, v20
	ds_write_b128 v84, v[16:19]
	ds_write_b128 v85, v[10:13]
	s_and_saveexec_b64 s[2:3], s[8:9]
	s_cbranch_execz .LBB0_7
; %bb.6:
	ds_write_b128 v65, v[0:3]
.LBB0_7:
	s_or_b64 exec, exec, s[2:3]
	v_add_u32_e32 v4, 0xe00, v60
	s_waitcnt lgkmcnt(0)
	s_barrier
	ds_read2_b64 v[16:19], v4 offset0:42 offset1:252
	v_add_u32_e32 v4, 0x1e00, v60
	ds_read2_b64 v[8:11], v60 offset1:210
	ds_read2_b64 v[12:15], v4 offset0:20 offset1:230
	s_movk_i32 s2, 0x46
	v_cmp_gt_u16_e64 s[4:5], s2, v64
                                        ; implicit-def: $vgpr20
                                        ; implicit-def: $vgpr26
	s_and_saveexec_b64 s[2:3], s[4:5]
	s_cbranch_execz .LBB0_9
; %bb.8:
	ds_read_b64 v[20:21], v60 offset:11200
	ds_read_b64 v[0:1], v60 offset:3360
	;; [unrolled: 1-line block ×3, first 2 shown]
	s_waitcnt lgkmcnt(2)
	v_mov_b32_e32 v26, v21
.LBB0_9:
	s_or_b64 exec, exec, s[2:3]
	v_and_b32_e32 v61, 1, v64
	v_lshlrev_b32_e32 v4, 4, v61
	global_load_dwordx4 v[4:7], v4, s[0:1]
	v_lshrrev_b32_e32 v21, 1, v64
	v_mul_u32_u24_e32 v21, 6, v21
	v_or_b32_e32 v21, v21, v61
	v_lshlrev_b32_e32 v93, 3, v21
	s_mov_b32 s2, 0x3f5db3d7
	v_lshrrev_b32_e32 v23, 1, v22
	v_mul_u32_u24_e32 v23, 6, v23
	v_or_b32_e32 v23, v23, v61
	v_lshlrev_b32_e32 v92, 3, v23
	v_lshrrev_b32_e32 v94, 1, v24
	s_waitcnt lgkmcnt(0)
	s_barrier
	s_waitcnt vmcnt(0)
	v_pk_mul_f32 v[28:29], v[18:19], v[4:5] op_sel:[0,1]
	v_mov_b32_e32 v30, v7
	v_pk_mul_f32 v[32:33], v[2:3], v[4:5] op_sel_hi:[0,1]
	v_pk_mul_f32 v[20:21], v[20:21], v[6:7] op_sel_hi:[0,1]
	v_pk_mul_f32 v[34:35], v[16:17], v[4:5] op_sel:[0,1]
	v_pk_fma_f32 v[36:37], v[18:19], v[4:5], v[28:29] op_sel:[0,0,1] op_sel_hi:[1,1,0] neg_lo:[0,0,1] neg_hi:[0,0,1]
	v_pk_fma_f32 v[18:19], v[18:19], v[4:5], v[28:29] op_sel:[0,0,1] op_sel_hi:[1,0,0]
	v_pk_mul_f32 v[28:29], v[14:15], v[30:31] op_sel_hi:[1,0]
	v_pk_fma_f32 v[38:39], v[2:3], v[4:5], v[32:33] op_sel:[1,0,1] op_sel_hi:[1,1,0]
	v_pk_fma_f32 v[2:3], v[2:3], v[4:5], v[32:33] op_sel:[1,0,1] op_sel_hi:[1,1,0] neg_lo:[1,0,0] neg_hi:[1,0,0]
	v_pk_fma_f32 v[32:33], v[26:27], v[6:7], v[20:21] op_sel:[0,0,1] op_sel_hi:[0,1,0]
	v_pk_fma_f32 v[20:21], v[26:27], v[6:7], v[20:21] op_sel:[0,0,1] op_sel_hi:[0,1,0] neg_lo:[1,0,0] neg_hi:[1,0,0]
	v_pk_fma_f32 v[26:27], v[16:17], v[4:5], v[34:35] op_sel:[0,0,1] op_sel_hi:[1,1,0] neg_lo:[0,0,1] neg_hi:[0,0,1]
	v_pk_fma_f32 v[16:17], v[16:17], v[4:5], v[34:35] op_sel:[0,0,1] op_sel_hi:[1,0,0]
	v_pk_mul_f32 v[30:31], v[12:13], v[30:31] op_sel_hi:[1,0]
	v_mov_b32_e32 v37, v19
	v_pk_fma_f32 v[18:19], v[14:15], v[6:7], v[28:29] op_sel:[0,0,1] op_sel_hi:[1,1,0] neg_lo:[0,0,1] neg_hi:[0,0,1]
	v_pk_fma_f32 v[14:15], v[14:15], v[6:7], v[28:29] op_sel:[0,0,1] op_sel_hi:[1,0,0]
	v_mov_b32_e32 v39, v3
	v_mov_b32_e32 v33, v21
	;; [unrolled: 1-line block ×7, first 2 shown]
	v_pk_fma_f32 v[16:17], v[12:13], v[6:7], v[30:31] op_sel:[0,0,1] op_sel_hi:[1,1,0] neg_lo:[0,0,1] neg_hi:[0,0,1]
	v_pk_fma_f32 v[12:13], v[12:13], v[6:7], v[30:31] op_sel:[0,0,1] op_sel_hi:[1,0,0]
	v_mov_b32_e32 v19, v15
	v_pk_add_f32 v[14:15], v[2:3], v[20:21]
	v_pk_add_f32 v[2:3], v[0:1], v[2:3]
	v_mov_b32_e32 v17, v13
	v_pk_add_f32 v[12:13], v[8:9], v[26:27]
	v_pk_add_f32 v[30:31], v[38:39], v[32:33] neg_lo:[0,1] neg_hi:[0,1]
	v_pk_add_f32 v[32:33], v[10:11], v[36:37]
	v_pk_add_f32 v[34:35], v[36:37], v[18:19]
	v_pk_add_f32 v[36:37], v[36:37], v[18:19] neg_lo:[0,1] neg_hi:[0,1]
	v_pk_fma_f32 v[0:1], v[14:15], 0.5, v[0:1] op_sel_hi:[1,0,1] neg_lo:[1,0,0] neg_hi:[1,0,0]
	v_pk_add_f32 v[28:29], v[2:3], v[20:21]
	v_pk_add_f32 v[2:3], v[12:13], v[16:17]
	;; [unrolled: 1-line block ×3, first 2 shown]
	v_pk_add_f32 v[14:15], v[26:27], v[16:17] neg_lo:[0,1] neg_hi:[0,1]
	v_pk_add_f32 v[16:17], v[32:33], v[18:19]
	v_pk_fma_f32 v[10:11], v[34:35], 0.5, v[10:11] op_sel_hi:[1,0,1] neg_lo:[1,0,0] neg_hi:[1,0,0]
	v_pk_mul_f32 v[18:19], v[36:37], s[2:3] op_sel_hi:[1,0]
	v_pk_fma_f32 v[26:27], v[30:31], s[2:3], v[0:1] op_sel_hi:[1,0,1] neg_lo:[1,0,0] neg_hi:[1,0,0]
	v_pk_fma_f32 v[30:31], v[30:31], s[2:3], v[0:1] op_sel_hi:[1,0,1]
	v_pk_fma_f32 v[0:1], v[12:13], 0.5, v[8:9] op_sel_hi:[1,0,1] neg_lo:[1,0,0] neg_hi:[1,0,0]
	v_pk_mul_f32 v[8:9], v[14:15], s[2:3] op_sel_hi:[1,0]
	v_pk_add_f32 v[12:13], v[10:11], v[18:19] op_sel:[0,1] op_sel_hi:[1,0] neg_lo:[0,1] neg_hi:[0,1]
	v_pk_add_f32 v[10:11], v[10:11], v[18:19] op_sel:[0,1] op_sel_hi:[1,0]
	v_pk_add_f32 v[14:15], v[0:1], v[8:9] op_sel:[0,1] op_sel_hi:[1,0]
	v_pk_add_f32 v[0:1], v[0:1], v[8:9] op_sel:[0,1] op_sel_hi:[1,0] neg_lo:[0,1] neg_hi:[0,1]
	v_mov_b32_e32 v20, v12
	v_mov_b32_e32 v21, v11
	;; [unrolled: 1-line block ×6, first 2 shown]
	ds_write2_b64 v93, v[2:3], v[8:9] offset1:2
	ds_write_b64 v93, v[0:1] offset:32
	ds_write2_b64 v92, v[16:17], v[10:11] offset1:2
	ds_write_b64 v92, v[20:21] offset:32
	s_and_saveexec_b64 s[2:3], s[4:5]
	s_cbranch_execz .LBB0_11
; %bb.10:
	v_mul_u32_u24_e32 v0, 6, v94
	v_or_b32_e32 v0, v0, v61
	v_lshlrev_b32_e32 v2, 3, v0
	v_mov_b32_e32 v0, v30
	v_mov_b32_e32 v1, v27
	ds_write2_b64 v2, v[28:29], v[0:1] offset1:2
	v_mov_b32_e32 v0, v26
	v_mov_b32_e32 v1, v31
	ds_write_b64 v2, v[0:1] offset:32
.LBB0_11:
	s_or_b64 exec, exec, s[2:3]
	s_waitcnt lgkmcnt(0)
	s_barrier
	ds_read_b64 v[24:25], v60
	ds_read_b64 v[36:37], v60 offset:2352
	ds_read_b64 v[34:35], v60 offset:4704
	;; [unrolled: 1-line block ×4, first 2 shown]
	s_movk_i32 s2, 0x54
	s_movk_i32 s6, 0x53
	v_cmp_gt_u16_e64 s[2:3], s2, v64
	v_cmp_lt_u16_e64 s[6:7], s6, v64
	s_and_saveexec_b64 s[18:19], s[6:7]
	s_xor_b64 s[18:19], exec, s[18:19]
	s_or_saveexec_b64 s[18:19], s[18:19]
                                        ; implicit-def: $vgpr40
                                        ; implicit-def: $vgpr42
	s_xor_b64 exec, exec, s[18:19]
	s_cbranch_execz .LBB0_13
; %bb.12:
	ds_read_b64 v[0:1], v60 offset:6384
	ds_read_b64 v[26:27], v60 offset:8736
	;; [unrolled: 1-line block ×5, first 2 shown]
	s_waitcnt lgkmcnt(4)
	v_mov_b32_e32 v30, v0
	s_waitcnt lgkmcnt(3)
	v_mov_b32_e32 v31, v27
	v_mov_b32_e32 v27, v1
	s_waitcnt lgkmcnt(2)
	v_mov_b32_e32 v42, v41
.LBB0_13:
	s_or_b64 exec, exec, s[18:19]
	s_movk_i32 s18, 0xab
	v_mul_lo_u16_sdwa v0, v64, s18 dst_sel:DWORD dst_unused:UNUSED_PAD src0_sel:BYTE_0 src1_sel:DWORD
	s_mov_b32 s18, 0xaaab
	v_lshrrev_b16_e32 v23, 10, v0
	v_mul_u32_u24_sdwa v0, v22, s18 dst_sel:DWORD dst_unused:UNUSED_PAD src0_sel:WORD_0 src1_sel:DWORD
	v_lshrrev_b32_e32 v100, 18, v0
	v_mul_lo_u16_e32 v0, 6, v100
	v_sub_u16_e32 v101, v22, v0
	v_lshlrev_b16_e32 v44, 5, v101
	v_mov_b32_e32 v45, 0
	v_mul_lo_u16_e32 v14, 6, v23
	v_lshl_add_u64 v[12:13], s[0:1], 0, v[44:45]
	global_load_dwordx4 v[0:3], v[12:13], off offset:48
	global_load_dwordx4 v[8:11], v[12:13], off offset:32
	v_sub_u16_e32 v12, v64, v14
	v_and_b32_e32 v22, 0xff, v12
	v_lshlrev_b32_e32 v41, 5, v22
	global_load_dwordx4 v[16:19], v41, s[0:1] offset:32
	global_load_dwordx4 v[12:15], v41, s[0:1] offset:48
	v_mul_u32_u24_e32 v23, 30, v23
	v_add_lshl_u32 v95, v23, v22, 3
	s_mov_b32 s22, 0x3f737871
	s_mov_b32 s18, 0x3f167918
	;; [unrolled: 1-line block ×3, first 2 shown]
	s_waitcnt lgkmcnt(0)
	s_barrier
	s_waitcnt vmcnt(3)
	v_pk_mul_f32 v[50:51], v[30:31], v[0:1] op_sel:[1,0]
	s_waitcnt vmcnt(2)
	v_pk_mul_f32 v[46:47], v[28:29], v[8:9] op_sel:[1,0]
	v_pk_mul_f32 v[48:49], v[26:27], v[10:11] op_sel:[1,0]
	v_pk_mul_f32 v[42:43], v[42:43], v[2:3] op_sel_hi:[0,1]
	s_waitcnt vmcnt(1)
	v_pk_mul_f32 v[52:53], v[36:37], v[16:17] op_sel:[0,1]
	v_mov_b32_e32 v44, v19
	s_waitcnt vmcnt(0)
	v_pk_mul_f32 v[54:55], v[38:39], v[12:13] op_sel:[0,1]
	v_mov_b32_e32 v56, v15
	v_pk_fma_f32 v[22:23], v[28:29], v[8:9], v[46:47] op_sel:[0,0,1] op_sel_hi:[1,1,0] neg_lo:[0,0,1] neg_hi:[0,0,1]
	v_pk_fma_f32 v[46:47], v[28:29], v[8:9], v[46:47] op_sel:[0,0,1] op_sel_hi:[0,1,0]
	v_pk_fma_f32 v[28:29], v[30:31], v[10:11], v[48:49] op_sel:[0,0,1] op_sel_hi:[1,1,0] neg_lo:[0,0,1] neg_hi:[0,0,1]
	v_pk_fma_f32 v[48:49], v[30:31], v[10:11], v[48:49] op_sel:[0,0,1] op_sel_hi:[0,1,0]
	;; [unrolled: 2-line block ×6, first 2 shown]
	v_pk_mul_f32 v[52:53], v[34:35], v[44:45] op_sel_hi:[1,0]
	v_pk_mul_f32 v[54:55], v[32:33], v[56:57] op_sel_hi:[1,0]
	v_mov_b32_e32 v23, v47
	v_mov_b32_e32 v27, v41
	;; [unrolled: 1-line block ×3, first 2 shown]
	v_pk_fma_f32 v[40:41], v[34:35], v[18:19], v[52:53] op_sel:[0,0,1] op_sel_hi:[1,1,0] neg_lo:[0,0,1] neg_hi:[0,0,1]
	v_pk_fma_f32 v[34:35], v[34:35], v[18:19], v[52:53] op_sel:[0,0,1] op_sel_hi:[1,0,0]
	v_pk_fma_f32 v[46:47], v[32:33], v[14:15], v[54:55] op_sel:[0,0,1] op_sel_hi:[1,1,0] neg_lo:[0,0,1] neg_hi:[0,0,1]
	v_pk_fma_f32 v[32:33], v[32:33], v[14:15], v[54:55] op_sel:[0,0,1] op_sel_hi:[1,0,0]
	v_mov_b32_e32 v29, v49
	v_mov_b32_e32 v31, v51
	;; [unrolled: 1-line block ×5, first 2 shown]
	v_pk_add_f32 v[34:35], v[24:25], v[42:43]
	v_pk_add_f32 v[38:39], v[22:23], v[28:29] neg_lo:[0,1] neg_hi:[0,1]
	v_pk_add_f32 v[48:49], v[26:27], v[30:31] neg_lo:[0,1] neg_hi:[0,1]
	v_pk_add_f32 v[52:53], v[22:23], v[26:27]
	v_pk_add_f32 v[54:55], v[34:35], v[40:41]
	v_pk_add_f32 v[56:57], v[40:41], v[58:59]
	v_pk_add_f32 v[80:81], v[42:43], v[46:47] neg_lo:[0,1] neg_hi:[0,1]
	v_pk_add_f32 v[86:87], v[40:41], v[58:59] neg_lo:[0,1] neg_hi:[0,1]
	v_pk_add_f32 v[82:83], v[42:43], v[40:41] neg_lo:[0,1] neg_hi:[0,1]
	v_pk_add_f32 v[88:89], v[46:47], v[58:59] neg_lo:[0,1] neg_hi:[0,1]
	v_pk_add_f32 v[34:35], v[38:39], v[48:49]
	v_pk_fma_f32 v[48:49], v[52:53], 0.5, v[20:21] op_sel_hi:[1,0,1] neg_lo:[1,0,0] neg_hi:[1,0,0]
	v_pk_add_f32 v[52:53], v[54:55], v[58:59]
	v_pk_fma_f32 v[54:55], v[56:57], 0.5, v[24:25] op_sel_hi:[1,0,1] neg_lo:[1,0,0] neg_hi:[1,0,0]
	v_pk_mul_f32 v[56:57], v[80:81], s[22:23] op_sel_hi:[1,0]
	v_pk_add_f32 v[88:89], v[82:83], v[88:89]
	v_pk_mul_f32 v[82:83], v[86:87], s[18:19] op_sel_hi:[1,0]
	v_pk_add_f32 v[96:97], v[54:55], v[56:57] op_sel:[0,1] op_sel_hi:[1,0]
	v_pk_add_f32 v[54:55], v[54:55], v[56:57] op_sel:[0,1] op_sel_hi:[1,0] neg_lo:[0,1] neg_hi:[0,1]
	v_pk_add_f32 v[96:97], v[96:97], v[82:83] op_sel:[0,1] op_sel_hi:[1,0]
	v_pk_add_f32 v[54:55], v[54:55], v[82:83] op_sel:[0,1] op_sel_hi:[1,0] neg_lo:[0,1] neg_hi:[0,1]
	v_pk_add_f32 v[36:37], v[28:29], v[30:31]
	v_pk_add_f32 v[32:33], v[28:29], v[30:31] neg_lo:[0,1] neg_hi:[0,1]
	v_mov_b32_e32 v82, v96
	v_mov_b32_e32 v83, v55
	v_pk_add_f32 v[50:51], v[22:23], v[26:27] neg_lo:[0,1] neg_hi:[0,1]
	v_pk_fma_f32 v[38:39], v[36:37], 0.5, v[20:21] op_sel_hi:[1,0,1] neg_lo:[1,0,0] neg_hi:[1,0,0]
	v_pk_fma_f32 v[90:91], v[32:33], s[22:23], v[48:49] op_sel:[1,0,0] op_sel_hi:[0,0,1]
	v_pk_fma_f32 v[48:49], v[32:33], s[22:23], v[48:49] op_sel:[1,0,0] op_sel_hi:[0,0,1] neg_lo:[1,0,0] neg_hi:[1,0,0]
	v_pk_add_f32 v[52:53], v[52:53], v[46:47]
	v_pk_fma_f32 v[82:83], v[88:89], s[20:21], v[82:83] op_sel_hi:[1,0,1]
	v_pk_fma_f32 v[36:37], v[50:51], s[22:23], v[38:39] op_sel:[1,0,0] op_sel_hi:[0,0,1] neg_lo:[1,0,0] neg_hi:[1,0,0]
	v_pk_fma_f32 v[38:39], v[50:51], s[22:23], v[38:39] op_sel:[1,0,0] op_sel_hi:[0,0,1]
	ds_write2_b64 v95, v[52:53], v[82:83] offset1:6
	v_pk_fma_f32 v[82:83], v[50:51], s[18:19], v[90:91] op_sel:[1,0,0] op_sel_hi:[0,0,1] neg_lo:[1,0,0] neg_hi:[1,0,0]
	v_pk_fma_f32 v[48:49], v[50:51], s[18:19], v[48:49] op_sel:[1,0,0] op_sel_hi:[0,0,1]
	v_pk_add_f32 v[50:51], v[28:29], v[22:23] neg_lo:[0,1] neg_hi:[0,1]
	v_pk_add_f32 v[52:53], v[30:31], v[26:27] neg_lo:[0,1] neg_hi:[0,1]
	v_pk_add_f32 v[40:41], v[40:41], v[42:43] neg_lo:[0,1] neg_hi:[0,1]
	v_pk_add_f32 v[50:51], v[50:51], v[52:53]
	v_mov_b32_e32 v52, v48
	v_mov_b32_e32 v53, v83
	;; [unrolled: 1-line block ×3, first 2 shown]
	v_pk_add_f32 v[48:49], v[42:43], v[46:47]
	v_pk_add_f32 v[42:43], v[58:59], v[46:47] neg_lo:[0,1] neg_hi:[0,1]
	v_pk_fma_f32 v[24:25], v[48:49], 0.5, v[24:25] op_sel_hi:[1,0,1] neg_lo:[1,0,0] neg_hi:[1,0,0]
	v_pk_add_f32 v[40:41], v[40:41], v[42:43]
	v_pk_mul_f32 v[42:43], v[86:87], s[22:23] op_sel_hi:[1,0]
	v_pk_fma_f32 v[56:57], v[32:33], s[18:19], v[36:37] op_sel:[1,0,0] op_sel_hi:[0,0,1] neg_lo:[1,0,0] neg_hi:[1,0,0]
	v_pk_add_f32 v[46:47], v[24:25], v[42:43] op_sel:[0,1] op_sel_hi:[1,0] neg_lo:[0,1] neg_hi:[0,1]
	v_pk_add_f32 v[24:25], v[24:25], v[42:43] op_sel:[0,1] op_sel_hi:[1,0]
	v_pk_mul_f32 v[42:43], v[80:81], s[18:19] op_sel_hi:[1,0]
	v_pk_fma_f32 v[98:99], v[32:33], s[18:19], v[38:39] op_sel:[1,0,0] op_sel_hi:[0,0,1]
	v_pk_add_f32 v[24:25], v[24:25], v[42:43] op_sel:[0,1] op_sel_hi:[1,0] neg_lo:[0,1] neg_hi:[0,1]
	v_pk_add_f32 v[42:43], v[46:47], v[42:43] op_sel:[0,1] op_sel_hi:[1,0]
	v_mov_b32_e32 v47, v25
	v_mov_b32_e32 v46, v42
	;; [unrolled: 1-line block ×4, first 2 shown]
	v_pk_fma_f32 v[42:43], v[40:41], s[20:21], v[46:47] op_sel_hi:[1,0,1]
	v_pk_fma_f32 v[24:25], v[40:41], s[20:21], v[24:25] op_sel_hi:[1,0,1]
	v_mov_b32_e32 v55, v97
	v_pk_fma_f32 v[52:53], v[50:51], s[20:21], v[52:53] op_sel_hi:[1,0,1]
	v_pk_fma_f32 v[82:83], v[50:51], s[20:21], v[82:83] op_sel_hi:[1,0,1]
	;; [unrolled: 1-line block ×3, first 2 shown]
	ds_write2_b64 v95, v[42:43], v[24:25] offset0:12 offset1:18
	v_pk_fma_f32 v[24:25], v[88:89], s[20:21], v[54:55] op_sel_hi:[1,0,1]
	v_mad_legacy_u16 v97, v100, 30, v101
	ds_write_b64 v95, v[24:25] offset:192
	s_and_saveexec_b64 s[22:23], s[2:3]
	s_cbranch_execz .LBB0_15
; %bb.14:
	v_pk_mul_f32 v[24:25], v[32:33], s[18:19] op_sel:[1,0] op_sel_hi:[0,0]
	v_pk_add_f32 v[20:21], v[20:21], v[22:23]
	v_pk_add_f32 v[22:23], v[38:39], v[24:25]
	;; [unrolled: 1-line block ×3, first 2 shown]
	v_pk_add_f32 v[24:25], v[36:37], v[24:25] neg_lo:[0,1] neg_hi:[0,1]
	v_pk_mul_f32 v[32:33], v[34:35], s[20:21] op_sel_hi:[1,0]
	v_pk_add_f32 v[20:21], v[20:21], v[30:31]
	v_mov_b32_e32 v23, v25
	v_lshlrev_b32_e32 v34, 3, v97
	v_pk_add_f32 v[20:21], v[20:21], v[26:27]
	v_pk_add_f32 v[22:23], v[32:33], v[22:23]
	ds_write2_b64 v34, v[20:21], v[22:23] offset1:6
	ds_write2_b64 v34, v[52:53], v[82:83] offset0:12 offset1:18
	ds_write_b64 v34, v[80:81] offset:192
.LBB0_15:
	s_or_b64 exec, exec, s[22:23]
	s_movk_i32 s18, 0x89
	v_mul_lo_u16_sdwa v20, v64, s18 dst_sel:DWORD dst_unused:UNUSED_PAD src0_sel:BYTE_0 src1_sel:DWORD
	v_lshrrev_b16_e32 v44, 12, v20
	v_mul_lo_u16_e32 v20, 30, v44
	v_sub_u16_e32 v20, v64, v20
	v_and_b32_e32 v48, 0xff, v20
	v_mad_u64_u32 v[32:33], s[18:19], v48, 48, s[0:1]
	s_waitcnt lgkmcnt(0)
	s_barrier
	global_load_dwordx4 v[28:31], v[32:33], off offset:240
	global_load_dwordx4 v[24:27], v[32:33], off offset:224
	;; [unrolled: 1-line block ×3, first 2 shown]
	v_add_u32_e32 v110, 0xc00, v60
	v_add_u32_e32 v111, 0x1a00, v60
	ds_read2_b64 v[32:35], v60 offset1:210
	ds_read_b64 v[46:47], v60 offset:10080
	ds_read2_b64 v[36:39], v110 offset0:36 offset1:246
	ds_read2_b64 v[40:43], v111 offset0:8 offset1:218
	v_mul_u32_u24_e32 v44, 0xd2, v44
	v_add_lshl_u32 v96, v44, v48, 3
	s_mov_b32 s20, 0x3eae86e6
	s_waitcnt lgkmcnt(1)
	v_mov_b32_e32 v48, v37
	s_waitcnt lgkmcnt(0)
	v_mov_b32_e32 v49, v40
	v_mov_b32_e32 v50, v43
	;; [unrolled: 1-line block ×3, first 2 shown]
	s_mov_b32 s21, 0xbf08b237
	s_mov_b32 s28, 0x3d64c772
	;; [unrolled: 1-line block ×9, first 2 shown]
	s_barrier
	s_mov_b32 s24, 0x3f5ff5aa
	s_mov_b32 s30, 0x3f3bfb3b
	s_waitcnt vmcnt(2)
	v_mul_f32_e32 v55, v39, v28
	v_mul_f32_e32 v57, v38, v29
	;; [unrolled: 1-line block ×4, first 2 shown]
	s_waitcnt vmcnt(1)
	v_mul_f32_e32 v54, v37, v27
	s_waitcnt vmcnt(0)
	v_mul_f32_e32 v56, v43, v21
	v_mov_b32_e32 v37, v41
	v_mov_b32_e32 v40, v27
	;; [unrolled: 1-line block ×6, first 2 shown]
	v_pk_mul_f32 v[88:89], v[34:35], v[24:25] op_sel_hi:[1,0]
	v_mov_b32_e32 v90, v26
	v_mov_b32_e32 v91, v30
	;; [unrolled: 1-line block ×4, first 2 shown]
	v_pk_mul_f32 v[100:101], v[46:47], v[22:23] op_sel_hi:[1,0]
	v_mov_b32_e32 v44, v23
	v_fma_f32 v54, v36, v26, -v54
	v_pk_mul_f32 v[36:37], v[36:37], v[40:41]
	v_pk_mul_f32 v[38:39], v[42:43], v[38:39]
	v_fma_f32 v56, v42, v20, -v56
	v_pk_fma_f32 v[102:103], v[34:35], v[24:25], v[88:89] op_sel:[0,1,1] op_sel_hi:[1,1,0]
	v_pk_fma_f32 v[34:35], v[34:35], v[24:25], v[88:89] op_sel:[0,1,1] op_sel_hi:[1,1,0] neg_lo:[1,0,0] neg_hi:[1,0,0]
	v_pk_fma_f32 v[40:41], v[46:47], v[44:45], v[100:101] op_sel:[0,0,1] op_sel_hi:[1,0,0]
	v_pk_fma_f32 v[42:43], v[46:47], v[44:45], v[100:101] op_sel:[0,0,1] op_sel_hi:[1,0,0] neg_lo:[1,0,0] neg_hi:[1,0,0]
	v_pk_fma_f32 v[88:89], v[48:49], v[26:27], v[36:37]
	v_pk_fma_f32 v[36:37], v[48:49], v[90:91], v[36:37] neg_lo:[0,0,1] neg_hi:[0,0,1]
	v_pk_fma_f32 v[48:49], v[50:51], v[20:21], v[38:39]
	v_pk_fma_f32 v[38:39], v[50:51], v[98:99], v[38:39] neg_lo:[0,0,1] neg_hi:[0,0,1]
	v_mov_b32_e32 v103, v35
	v_mov_b32_e32 v41, v43
	;; [unrolled: 1-line block ×6, first 2 shown]
	v_pk_add_f32 v[46:47], v[54:55], v[56:57]
	v_mov_b32_e32 v35, v54
	v_mov_b32_e32 v43, v56
	v_pk_add_f32 v[50:51], v[102:103], v[40:41]
	v_pk_add_f32 v[54:55], v[58:59], v[86:87]
	;; [unrolled: 1-line block ×3, first 2 shown]
	v_mov_b32_e32 v42, v47
	v_mov_b32_e32 v36, v39
	v_mov_b32_e32 v38, v37
	v_mov_b32_e32 v34, v55
	v_mov_b32_e32 v39, v50
	v_mov_b32_e32 v37, v56
	v_pk_add_f32 v[40:41], v[102:103], v[40:41] neg_lo:[0,1] neg_hi:[0,1]
	v_pk_add_f32 v[48:49], v[88:89], v[48:49] neg_lo:[0,1] neg_hi:[0,1]
	v_pk_add_f32 v[88:89], v[46:47], v[54:55]
	v_pk_add_f32 v[34:35], v[34:35], v[42:43] neg_lo:[0,1] neg_hi:[0,1]
	v_pk_add_f32 v[36:37], v[36:37], v[38:39]
	v_mov_b32_e32 v87, v41
	v_mov_b32_e32 v86, v34
	;; [unrolled: 1-line block ×7, first 2 shown]
	v_pk_add_f32 v[86:87], v[86:87], v[48:49] neg_lo:[0,1] neg_hi:[0,1]
	v_pk_add_f32 v[90:91], v[90:91], v[46:47] neg_lo:[0,1] neg_hi:[0,1]
	v_mov_b32_e32 v55, v89
	v_mov_b32_e32 v98, v36
	;; [unrolled: 1-line block ×3, first 2 shown]
	v_pk_add_f32 v[36:37], v[88:89], v[36:37]
	v_pk_add_f32 v[42:43], v[58:59], v[34:35] neg_lo:[0,1] neg_hi:[0,1]
	v_pk_add_f32 v[58:59], v[48:49], v[34:35]
	v_pk_mul_f32 v[86:87], v[86:87], s[22:23]
	v_pk_add_f32 v[98:99], v[54:55], v[98:99] neg_lo:[0,1] neg_hi:[0,1]
	v_pk_add_f32 v[32:33], v[32:33], v[36:37]
	v_pk_mul_f32 v[88:89], v[90:91], s[28:29]
	v_pk_mul_f32 v[38:39], v[42:43], s[20:21]
	v_pk_add_f32 v[58:59], v[58:59], v[40:41]
	v_pk_mul_f32 v[90:91], v[98:99], s[34:35]
	v_pk_fma_f32 v[36:37], v[36:37], s[26:27], v[32:33] op_sel_hi:[1,0,1] neg_lo:[1,0,0] neg_hi:[1,0,0]
	v_pk_fma_f32 v[98:99], v[98:99], s[34:35], v[88:89]
	v_pk_fma_f32 v[42:43], v[42:43], s[20:21], v[86:87]
	v_pk_add_f32 v[98:99], v[98:99], v[36:37]
	v_pk_fma_f32 v[42:43], v[58:59], s[18:19], v[42:43] op_sel_hi:[1,0,1]
	v_mov_b32_e32 v49, v35
	v_pk_add_f32 v[100:101], v[98:99], v[42:43]
	v_pk_add_f32 v[42:43], v[98:99], v[42:43] neg_lo:[0,1] neg_hi:[0,1]
	v_mov_b32_e32 v98, v100
	v_mov_b32_e32 v99, v43
	;; [unrolled: 1-line block ×4, first 2 shown]
	ds_write2_b64 v96, v[32:33], v[98:99] offset1:30
	v_pk_add_f32 v[32:33], v[48:49], v[40:41] neg_lo:[0,1] neg_hi:[0,1]
	v_pk_add_f32 v[34:35], v[46:47], v[54:55] neg_lo:[0,1] neg_hi:[0,1]
	v_mov_b32_e32 v40, v90
	v_mov_b32_e32 v41, v89
	;; [unrolled: 1-line block ×6, first 2 shown]
	v_pk_fma_f32 v[40:41], v[34:35], s[30:31], v[40:41] op_sel_hi:[1,0,1] neg_lo:[1,0,1] neg_hi:[1,0,1]
	v_pk_fma_f32 v[46:47], v[32:33], s[24:25], v[46:47] op_sel_hi:[1,0,1] neg_lo:[1,0,1] neg_hi:[1,0,1]
	v_pk_fma_f32 v[34:35], v[34:35], s[30:31], v[88:89] op_sel_hi:[1,0,1] neg_lo:[0,0,1] neg_hi:[0,0,1]
	v_pk_fma_f32 v[32:33], v[32:33], s[24:25], v[86:87] op_sel_hi:[1,0,1] neg_lo:[0,0,1] neg_hi:[0,0,1]
	v_pk_add_f32 v[40:41], v[40:41], v[36:37]
	v_pk_fma_f32 v[46:47], v[58:59], s[18:19], v[46:47] op_sel_hi:[1,0,1]
	v_pk_add_f32 v[34:35], v[34:35], v[36:37]
	v_pk_fma_f32 v[32:33], v[58:59], s[18:19], v[32:33] op_sel_hi:[1,0,1]
	v_pk_add_f32 v[48:49], v[40:41], v[46:47]
	v_pk_add_f32 v[40:41], v[40:41], v[46:47] neg_lo:[0,1] neg_hi:[0,1]
	v_pk_add_f32 v[36:37], v[34:35], v[32:33] neg_lo:[0,1] neg_hi:[0,1]
	v_pk_add_f32 v[32:33], v[34:35], v[32:33]
	v_mov_b32_e32 v46, v48
	v_mov_b32_e32 v47, v41
	;; [unrolled: 1-line block ×4, first 2 shown]
	ds_write2_b64 v96, v[46:47], v[34:35] offset0:60 offset1:90
	v_mov_b32_e32 v33, v37
	v_mov_b32_e32 v41, v49
	;; [unrolled: 1-line block ×3, first 2 shown]
	v_mad_u64_u32 v[46:47], s[0:1], v64, 48, s[0:1]
	ds_write2_b64 v96, v[32:33], v[40:41] offset0:120 offset1:150
	ds_write_b64 v96, v[42:43] offset:1440
	s_waitcnt lgkmcnt(0)
	s_barrier
	global_load_dwordx4 v[40:43], v[46:47], off offset:1680
	global_load_dwordx4 v[36:39], v[46:47], off offset:1664
	global_load_dwordx4 v[32:35], v[46:47], off offset:1696
	ds_read2_b64 v[46:49], v110 offset0:36 offset1:246
	ds_read2_b64 v[54:57], v111 offset0:8 offset1:218
	ds_read2_b64 v[86:89], v60 offset1:210
	v_lshlrev_b32_e32 v44, 3, v64
	v_lshl_add_u64 v[50:51], s[16:17], 0, v[44:45]
	s_movk_i32 s0, 0x2000
	s_waitcnt vmcnt(2) lgkmcnt(2)
	v_mul_f32_e32 v44, v49, v41
	v_mul_f32_e32 v45, v48, v41
	s_waitcnt lgkmcnt(1)
	v_mul_f32_e32 v58, v55, v43
	v_mul_f32_e32 v59, v54, v43
	v_fma_f32 v48, v48, v40, -v44
	v_fmac_f32_e32 v45, v49, v40
	v_fma_f32 v54, v54, v42, -v58
	v_fmac_f32_e32 v59, v55, v42
	s_waitcnt vmcnt(1) lgkmcnt(0)
	v_pk_mul_f32 v[90:91], v[88:89], v[36:37] op_sel:[0,1]
	v_add_f32_e32 v44, v48, v54
	v_add_f32_e32 v49, v45, v59
	v_sub_f32_e32 v55, v54, v48
	v_pk_fma_f32 v[98:99], v[88:89], v[36:37], v[90:91] op_sel:[0,0,1] op_sel_hi:[1,1,0] neg_lo:[0,0,1] neg_hi:[0,0,1]
	v_pk_fma_f32 v[88:89], v[88:89], v[36:37], v[90:91] op_sel:[0,0,1] op_sel_hi:[1,0,0]
	v_mov_b32_e32 v48, v39
	v_sub_f32_e32 v54, v59, v45
	ds_read_b64 v[58:59], v60 offset:10080
	v_mov_b32_e32 v99, v89
	v_pk_mul_f32 v[88:89], v[46:47], v[48:49] op_sel_hi:[1,0]
	v_mov_b32_e32 v106, v54
	v_pk_fma_f32 v[90:91], v[46:47], v[38:39], v[88:89] op_sel:[0,0,1] op_sel_hi:[1,1,0] neg_lo:[0,0,1] neg_hi:[0,0,1]
	v_pk_fma_f32 v[46:47], v[46:47], v[38:39], v[88:89] op_sel:[0,0,1] op_sel_hi:[1,0,0]
	v_mov_b32_e32 v109, v55
	v_mov_b32_e32 v91, v47
	s_waitcnt vmcnt(0)
	v_pk_mul_f32 v[46:47], v[56:57], v[32:33] op_sel:[0,1]
	s_nop 0
	v_pk_fma_f32 v[88:89], v[56:57], v[32:33], v[46:47] op_sel:[0,0,1] op_sel_hi:[1,1,0] neg_lo:[0,0,1] neg_hi:[0,0,1]
	v_pk_fma_f32 v[46:47], v[56:57], v[32:33], v[46:47] op_sel:[0,0,1] op_sel_hi:[1,0,0]
	s_nop 0
	v_mov_b32_e32 v46, v35
	v_mov_b32_e32 v89, v47
	s_waitcnt lgkmcnt(0)
	v_pk_mul_f32 v[46:47], v[58:59], v[46:47] op_sel_hi:[1,0]
	s_nop 0
	v_pk_fma_f32 v[56:57], v[58:59], v[34:35], v[46:47] op_sel:[0,0,1] op_sel_hi:[1,1,0] neg_lo:[0,0,1] neg_hi:[0,0,1]
	v_pk_fma_f32 v[46:47], v[58:59], v[34:35], v[46:47] op_sel:[0,0,1] op_sel_hi:[1,0,0]
	v_pk_add_f32 v[58:59], v[90:91], v[88:89]
	v_mov_b32_e32 v57, v47
	v_pk_add_f32 v[46:47], v[98:99], v[56:57]
	v_mov_b32_e32 v48, v58
	v_mov_b32_e32 v45, v47
	v_pk_add_f32 v[88:89], v[90:91], v[88:89] neg_lo:[0,1] neg_hi:[0,1]
	v_pk_add_f32 v[100:101], v[58:59], v[46:47]
	v_pk_add_f32 v[102:103], v[58:59], v[46:47] neg_lo:[0,1] neg_hi:[0,1]
	v_pk_add_f32 v[56:57], v[98:99], v[56:57] neg_lo:[0,1] neg_hi:[0,1]
	;; [unrolled: 1-line block ×3, first 2 shown]
	v_mov_b32_e32 v47, v49
	v_mov_b32_e32 v45, v59
	;; [unrolled: 1-line block ×3, first 2 shown]
	v_pk_add_f32 v[46:47], v[46:47], v[44:45] neg_lo:[0,1] neg_hi:[0,1]
	v_pk_add_f32 v[58:59], v[54:55], v[88:89] op_sel:[0,1] op_sel_hi:[1,0]
	v_mov_b32_e32 v107, v56
	v_mov_b32_e32 v108, v89
	v_mov_b32_e32 v99, v55
	v_mov_b32_e32 v55, v88
	v_mov_b32_e32 v45, v49
	v_pk_add_f32 v[106:107], v[106:107], v[108:109] neg_lo:[0,1] neg_hi:[0,1]
	v_pk_add_f32 v[54:55], v[98:99], v[54:55] neg_lo:[0,1] neg_hi:[0,1]
	v_pk_add_f32 v[44:45], v[44:45], v[100:101]
	v_pk_add_f32 v[88:89], v[88:89], v[56:57] op_sel:[1,1] op_sel_hi:[0,0] neg_lo:[0,1] neg_hi:[0,1]
	v_pk_add_f32 v[48:49], v[58:59], v[56:57] op_sel:[0,1] op_sel_hi:[1,0]
	v_pk_add_f32 v[56:57], v[86:87], v[44:45]
	v_pk_mul_f32 v[58:59], v[104:105], s[28:29]
	v_pk_mul_f32 v[46:47], v[46:47], s[34:35]
	;; [unrolled: 1-line block ×4, first 2 shown]
	v_pk_fma_f32 v[54:55], v[104:105], s[28:29], v[46:47]
	v_mov_b32_e32 v98, v58
	v_mov_b32_e32 v99, v47
	;; [unrolled: 1-line block ×4, first 2 shown]
	v_pk_fma_f32 v[44:45], v[44:45], s[26:27], v[56:57] op_sel_hi:[1,0,1] neg_lo:[1,0,0] neg_hi:[1,0,0]
	v_pk_fma_f32 v[98:99], v[102:103], s[30:31], v[98:99] op_sel_hi:[1,0,1] neg_lo:[0,0,1] neg_hi:[0,0,1]
	v_pk_fma_f32 v[100:101], v[106:107], s[22:23], v[86:87]
	v_pk_fma_f32 v[104:105], v[88:89], s[24:25], v[104:105] op_sel_hi:[1,0,1] neg_lo:[0,0,1] neg_hi:[0,0,1]
	v_pk_add_f32 v[54:55], v[54:55], v[44:45]
	v_pk_add_f32 v[98:99], v[98:99], v[44:45]
	v_pk_fma_f32 v[100:101], v[48:49], s[18:19], v[100:101] op_sel_hi:[1,0,1]
	v_pk_fma_f32 v[104:105], v[48:49], s[18:19], v[104:105] op_sel_hi:[1,0,1]
	v_mov_b32_e32 v47, v59
	v_pk_add_f32 v[106:107], v[98:99], v[104:105] neg_lo:[0,1] neg_hi:[0,1]
	v_pk_add_f32 v[98:99], v[98:99], v[104:105]
	v_pk_add_f32 v[104:105], v[54:55], v[100:101]
	v_pk_add_f32 v[100:101], v[54:55], v[100:101] neg_lo:[0,1] neg_hi:[0,1]
	v_mov_b32_e32 v55, v105
	v_mov_b32_e32 v105, v101
	;; [unrolled: 1-line block ×3, first 2 shown]
	ds_write2_b64 v60, v[56:57], v[104:105] offset1:210
	v_pk_fma_f32 v[46:47], v[102:103], s[30:31], v[46:47] op_sel_hi:[1,0,1] neg_lo:[1,0,1] neg_hi:[1,0,1]
	v_pk_fma_f32 v[56:57], v[88:89], s[24:25], v[86:87] op_sel_hi:[1,0,1] neg_lo:[1,0,1] neg_hi:[1,0,1]
	v_pk_add_f32 v[44:45], v[46:47], v[44:45]
	v_pk_fma_f32 v[46:47], v[48:49], s[18:19], v[56:57] op_sel_hi:[1,0,1]
	v_mov_b32_e32 v56, v106
	v_pk_add_f32 v[48:49], v[44:45], v[46:47] neg_lo:[0,1] neg_hi:[0,1]
	v_pk_add_f32 v[44:45], v[44:45], v[46:47]
	v_mov_b32_e32 v47, v49
	v_mov_b32_e32 v46, v44
	v_add_co_u32_e32 v44, vcc, s0, v50
	v_mov_b32_e32 v57, v99
	v_mov_b32_e32 v99, v107
	;; [unrolled: 1-line block ×3, first 2 shown]
	v_addc_co_u32_e32 v45, vcc, 0, v51, vcc
	v_mov_b32_e32 v54, v100
	ds_write2_b64 v110, v[46:47], v[56:57] offset0:36 offset1:246
	ds_write2_b64 v111, v[98:99], v[48:49] offset0:8 offset1:218
	ds_write_b64 v60, v[54:55] offset:10080
	s_waitcnt lgkmcnt(0)
	s_barrier
	global_load_dwordx2 v[56:57], v[44:45], off offset:3568
	s_movk_i32 s0, 0x4000
	v_add_co_u32_e32 v46, vcc, s0, v50
	s_mov_b64 s[0:1], 0x2df0
	s_nop 0
	v_addc_co_u32_e32 v47, vcc, 0, v51, vcc
	global_load_dwordx2 v[86:87], v[46:47], off offset:1256
	v_lshl_add_u64 v[44:45], v[50:51], 0, s[0:1]
	global_load_dwordx2 v[88:89], v[44:45], off offset:1680
	global_load_dwordx2 v[90:91], v[46:47], off offset:2936
	;; [unrolled: 1-line block ×3, first 2 shown]
	v_add_co_u32_e32 v46, vcc, 0x5000, v50
	s_nop 1
	v_addc_co_u32_e32 v47, vcc, 0, v51, vcc
	global_load_dwordx2 v[50:51], v[46:47], off offset:520
	ds_read2_b64 v[46:49], v60 offset1:210
	s_waitcnt vmcnt(5) lgkmcnt(0)
	v_mul_f32_e32 v58, v47, v57
	v_mul_f32_e32 v59, v46, v57
	v_fma_f32 v58, v46, v56, -v58
	v_fmac_f32_e32 v59, v47, v56
	ds_write_b64 v60, v[58:59]
	v_add_u32_e32 v46, 0x1600, v60
	ds_read2_b64 v[56:59], v46 offset0:31 offset1:241
	s_waitcnt vmcnt(4) lgkmcnt(0)
	v_mul_f32_e32 v47, v57, v87
	v_mul_f32_e32 v101, v56, v87
	v_fma_f32 v100, v56, v86, -v47
	v_fmac_f32_e32 v101, v57, v86
	s_waitcnt vmcnt(3)
	v_mul_f32_e32 v47, v49, v89
	v_mul_f32_e32 v57, v48, v89
	v_fma_f32 v56, v48, v88, -v47
	v_fmac_f32_e32 v57, v49, v88
	s_waitcnt vmcnt(2)
	v_mul_f32_e32 v47, v59, v91
	ds_read_b64 v[86:87], v60 offset:3360
	v_mul_f32_e32 v49, v58, v91
	v_fma_f32 v48, v58, v90, -v47
	v_fmac_f32_e32 v49, v59, v90
	ds_write2_b64 v46, v[100:101], v[48:49] offset0:31 offset1:241
	ds_read_b64 v[48:49], v60 offset:9240
	s_waitcnt vmcnt(1) lgkmcnt(2)
	v_mul_f32_e32 v47, v87, v99
	v_mul_f32_e32 v59, v86, v99
	v_fma_f32 v58, v86, v98, -v47
	v_fmac_f32_e32 v59, v87, v98
	v_add_u32_e32 v47, 0x600, v60
	ds_write2_b64 v47, v[56:57], v[58:59] offset0:18 offset1:228
	s_waitcnt vmcnt(0) lgkmcnt(1)
	v_mul_f32_e32 v47, v49, v51
	v_mul_f32_e32 v57, v48, v51
	v_fma_f32 v56, v48, v50, -v47
	v_fmac_f32_e32 v57, v49, v50
	ds_write_b64 v60, v[56:57] offset:9240
	s_and_saveexec_b64 s[0:1], s[8:9]
	s_cbranch_execz .LBB0_17
; %bb.16:
	v_add_co_u32_e32 v48, vcc, 0x1000, v44
	s_nop 1
	v_addc_co_u32_e32 v49, vcc, 0, v45, vcc
	v_add_co_u32_e32 v44, vcc, 0x2000, v44
	global_load_dwordx2 v[48:49], v[48:49], off offset:944
	s_nop 0
	v_addc_co_u32_e32 v45, vcc, 0, v45, vcc
	global_load_dwordx2 v[44:45], v[44:45], off offset:2728
	ds_read_b64 v[50:51], v60 offset:5040
	ds_read_b64 v[56:57], v60 offset:10920
	s_waitcnt vmcnt(1) lgkmcnt(1)
	v_mul_f32_e32 v47, v51, v49
	v_mul_f32_e32 v59, v50, v49
	v_fma_f32 v58, v50, v48, -v47
	s_waitcnt vmcnt(0) lgkmcnt(0)
	v_mul_f32_e32 v47, v57, v45
	v_mul_f32_e32 v49, v56, v45
	v_fmac_f32_e32 v59, v51, v48
	v_fma_f32 v48, v56, v44, -v47
	v_fmac_f32_e32 v49, v57, v44
	ds_write_b64 v60, v[58:59] offset:5040
	ds_write_b64 v60, v[48:49] offset:10920
.LBB0_17:
	s_or_b64 exec, exec, s[0:1]
	s_waitcnt lgkmcnt(0)
	s_barrier
	ds_read2_b64 v[48:51], v60 offset1:210
	ds_read2_b64 v[44:47], v46 offset0:31 offset1:241
	ds_read_b64 v[56:57], v60 offset:3360
	ds_read_b64 v[58:59], v60 offset:9240
	s_and_saveexec_b64 s[0:1], s[8:9]
	s_cbranch_execz .LBB0_19
; %bb.18:
	ds_read_b64 v[54:55], v60 offset:5040
	ds_read_b64 v[52:53], v60 offset:10920
.LBB0_19:
	s_or_b64 exec, exec, s[0:1]
	s_waitcnt lgkmcnt(2)
	v_pk_add_f32 v[88:89], v[48:49], v[44:45] neg_lo:[0,1] neg_hi:[0,1]
	v_pk_add_f32 v[90:91], v[50:51], v[46:47] neg_lo:[0,1] neg_hi:[0,1]
	s_waitcnt lgkmcnt(0)
	v_pk_add_f32 v[58:59], v[56:57], v[58:59] neg_lo:[0,1] neg_hi:[0,1]
	v_pk_add_f32 v[46:47], v[54:55], v[52:53] neg_lo:[0,1] neg_hi:[0,1]
	v_pk_fma_f32 v[86:87], v[48:49], 2.0, v[88:89] op_sel_hi:[1,0,1] neg_lo:[0,0,1] neg_hi:[0,0,1]
	v_pk_fma_f32 v[44:45], v[54:55], 2.0, v[46:47] op_sel_hi:[1,0,1] neg_lo:[0,0,1] neg_hi:[0,0,1]
	s_barrier
	ds_write_b128 v71, v[86:89]
	v_pk_fma_f32 v[88:89], v[50:51], 2.0, v[90:91] op_sel_hi:[1,0,1] neg_lo:[0,0,1] neg_hi:[0,0,1]
	v_pk_fma_f32 v[56:57], v[56:57], 2.0, v[58:59] op_sel_hi:[1,0,1] neg_lo:[0,0,1] neg_hi:[0,0,1]
	ds_write_b128 v84, v[88:91]
	ds_write_b128 v85, v[56:59]
	s_and_saveexec_b64 s[0:1], s[8:9]
	s_cbranch_execz .LBB0_21
; %bb.20:
	ds_write_b128 v65, v[44:47]
.LBB0_21:
	s_or_b64 exec, exec, s[0:1]
	v_add_u32_e32 v52, 0xe00, v60
	s_waitcnt lgkmcnt(0)
	s_barrier
	ds_read2_b64 v[56:59], v52 offset0:42 offset1:252
	v_add_u32_e32 v52, 0x1e00, v60
	ds_read2_b64 v[48:51], v60 offset1:210
	ds_read2_b64 v[52:55], v52 offset0:20 offset1:230
	v_mov_b32_e32 v84, v4
	v_mov_b32_e32 v85, v4
	;; [unrolled: 1-line block ×8, first 2 shown]
	s_and_saveexec_b64 s[0:1], s[4:5]
	s_cbranch_execz .LBB0_23
; %bb.22:
	ds_read_b64 v[44:45], v60 offset:3360
	ds_read_b64 v[46:47], v60 offset:7280
	;; [unrolled: 1-line block ×3, first 2 shown]
.LBB0_23:
	s_or_b64 exec, exec, s[0:1]
	s_waitcnt lgkmcnt(1)
	v_pk_mul_f32 v[102:103], v[4:5], v[46:47] op_sel_hi:[1,0]
	s_waitcnt lgkmcnt(0)
	v_pk_mul_f32 v[104:105], v[6:7], v[82:83] op_sel_hi:[1,0]
	v_pk_fma_f32 v[108:109], v[4:5], v[46:47], v[102:103] op_sel:[0,0,1] op_sel_hi:[1,1,0]
	v_pk_fma_f32 v[4:5], v[4:5], v[46:47], v[102:103] op_sel:[0,1,1] op_sel_hi:[1,1,0] neg_lo:[0,0,1] neg_hi:[0,0,1]
	v_pk_fma_f32 v[46:47], v[6:7], v[82:83], v[104:105] op_sel:[0,0,1] op_sel_hi:[1,1,0]
	v_pk_fma_f32 v[6:7], v[6:7], v[82:83], v[104:105] op_sel:[0,1,1] op_sel_hi:[1,1,0] neg_lo:[0,0,1] neg_hi:[0,0,1]
	v_mov_b32_e32 v5, v109
	v_mov_b32_e32 v7, v47
	v_mov_b32_e32 v82, v109
	v_mov_b32_e32 v83, v4
	v_mov_b32_e32 v46, v47
	v_mov_b32_e32 v47, v6
	v_pk_add_f32 v[104:105], v[4:5], v[6:7] neg_lo:[0,1] neg_hi:[0,1]
	v_pk_add_f32 v[4:5], v[82:83], v[44:45]
	v_pk_add_f32 v[102:103], v[82:83], v[46:47]
	;; [unrolled: 1-line block ×3, first 2 shown]
	v_pk_mul_f32 v[46:47], v[86:87], v[56:57]
	v_pk_mul_f32 v[98:99], v[86:87], v[58:59]
	v_pk_fma_f32 v[82:83], v[84:85], v[56:57], v[46:47] op_sel:[0,0,1] op_sel_hi:[1,1,0]
	v_pk_fma_f32 v[46:47], v[84:85], v[56:57], v[46:47] op_sel:[0,0,1] op_sel_hi:[1,1,0] neg_lo:[0,0,1] neg_hi:[0,0,1]
	v_pk_mul_f32 v[100:101], v[90:91], v[54:55]
	v_mov_b32_e32 v83, v47
	v_pk_mul_f32 v[46:47], v[90:91], v[52:53]
	v_pk_fma_f32 v[106:107], v[84:85], v[58:59], v[98:99] op_sel:[0,0,1] op_sel_hi:[1,1,0]
	v_pk_fma_f32 v[56:57], v[88:89], v[52:53], v[46:47] op_sel:[0,0,1] op_sel_hi:[1,1,0]
	v_pk_fma_f32 v[46:47], v[88:89], v[52:53], v[46:47] op_sel:[0,0,1] op_sel_hi:[1,1,0] neg_lo:[0,0,1] neg_hi:[0,0,1]
	v_pk_fma_f32 v[58:59], v[84:85], v[58:59], v[98:99] op_sel:[0,0,1] op_sel_hi:[1,1,0] neg_lo:[0,0,1] neg_hi:[0,0,1]
	v_mov_b32_e32 v57, v47
	v_pk_add_f32 v[52:53], v[82:83], v[56:57]
	v_mov_b32_e32 v107, v59
	v_pk_fma_f32 v[58:59], v[88:89], v[54:55], v[100:101] op_sel:[0,0,1] op_sel_hi:[1,1,0]
	v_pk_fma_f32 v[54:55], v[88:89], v[54:55], v[100:101] op_sel:[0,0,1] op_sel_hi:[1,1,0] neg_lo:[0,0,1] neg_hi:[0,0,1]
	s_mov_b32 s0, 0x3f5db3d7
	v_pk_add_f32 v[46:47], v[48:49], v[82:83]
	v_pk_fma_f32 v[48:49], v[52:53], 0.5, v[48:49] op_sel_hi:[1,0,1] neg_lo:[1,0,0] neg_hi:[1,0,0]
	v_pk_add_f32 v[52:53], v[82:83], v[56:57] neg_lo:[0,1] neg_hi:[0,1]
	v_mov_b32_e32 v59, v55
	v_pk_mul_f32 v[52:53], v[52:53], s[0:1] op_sel_hi:[1,0]
	v_pk_add_f32 v[54:55], v[106:107], v[58:59]
	v_pk_add_f32 v[98:99], v[106:107], v[58:59] neg_lo:[0,1] neg_hi:[0,1]
	v_pk_add_f32 v[46:47], v[46:47], v[56:57]
	v_pk_add_f32 v[56:57], v[48:49], v[52:53] op_sel:[0,1] op_sel_hi:[1,0] neg_lo:[0,1] neg_hi:[0,1]
	v_pk_add_f32 v[48:49], v[48:49], v[52:53] op_sel:[0,1] op_sel_hi:[1,0]
	v_pk_fma_f32 v[54:55], v[54:55], 0.5, v[50:51] op_sel_hi:[1,0,1] neg_lo:[1,0,0] neg_hi:[1,0,0]
	v_pk_mul_f32 v[98:99], v[98:99], s[0:1] op_sel_hi:[1,0]
	v_mov_b32_e32 v52, v56
	v_mov_b32_e32 v53, v49
	v_pk_add_f32 v[100:101], v[54:55], v[98:99] op_sel:[0,1] op_sel_hi:[1,0]
	v_pk_add_f32 v[98:99], v[54:55], v[98:99] op_sel:[0,1] op_sel_hi:[1,0] neg_lo:[0,1] neg_hi:[0,1]
	v_pk_fma_f32 v[102:103], v[102:103], 0.5, v[44:45] op_sel_hi:[1,0,1] neg_lo:[1,0,0] neg_hi:[1,0,0]
	s_barrier
	ds_write2_b64 v93, v[46:47], v[52:53] offset1:2
	v_pk_add_f32 v[46:47], v[50:51], v[106:107]
	v_mov_b32_e32 v54, v100
	v_mov_b32_e32 v55, v99
	v_pk_fma_f32 v[6:7], v[104:105], s[0:1], v[102:103] op_sel_hi:[1,0,1]
	v_pk_fma_f32 v[44:45], v[104:105], s[0:1], v[102:103] op_sel_hi:[1,0,1] neg_lo:[1,0,0] neg_hi:[1,0,0]
	v_mov_b32_e32 v49, v57
	v_pk_add_f32 v[46:47], v[46:47], v[58:59]
	v_mov_b32_e32 v99, v101
	ds_write_b64 v93, v[48:49] offset:32
	ds_write2_b64 v92, v[46:47], v[98:99] offset1:2
	ds_write_b64 v92, v[54:55] offset:32
	s_and_saveexec_b64 s[0:1], s[4:5]
	s_cbranch_execz .LBB0_25
; %bb.24:
	v_mul_u32_u24_e32 v46, 6, v94
	v_or_b32_e32 v46, v46, v61
	v_lshlrev_b32_e32 v48, 3, v46
	v_mov_b32_e32 v46, v44
	v_mov_b32_e32 v47, v7
	ds_write2_b64 v48, v[4:5], v[46:47] offset1:2
	v_mov_b32_e32 v46, v6
	v_mov_b32_e32 v47, v45
	ds_write_b64 v48, v[46:47] offset:32
.LBB0_25:
	s_or_b64 exec, exec, s[0:1]
	s_waitcnt lgkmcnt(0)
	s_barrier
	ds_read_b64 v[46:47], v60
	ds_read_b64 v[56:57], v60 offset:2352
	ds_read_b64 v[52:53], v60 offset:4704
	;; [unrolled: 1-line block ×4, first 2 shown]
	s_and_saveexec_b64 s[0:1], s[6:7]
	s_xor_b64 s[0:1], exec, s[0:1]
	s_or_saveexec_b64 s[0:1], s[0:1]
	v_mov_b32_e32 v86, v16
	v_mov_b32_e32 v87, v16
	;; [unrolled: 1-line block ×12, first 2 shown]
	s_xor_b64 exec, exec, s[0:1]
	s_cbranch_execz .LBB0_27
; %bb.26:
	ds_read_b64 v[44:45], v60 offset:6384
	ds_read_b64 v[88:89], v60 offset:8736
	;; [unrolled: 1-line block ×5, first 2 shown]
	s_waitcnt lgkmcnt(4)
	v_mov_b32_e32 v7, v45
	s_waitcnt lgkmcnt(3)
	v_mov_b32_e32 v6, v88
	v_mov_b32_e32 v45, v89
.LBB0_27:
	s_or_b64 exec, exec, s[0:1]
	s_waitcnt lgkmcnt(3)
	v_pk_mul_f32 v[16:17], v[16:17], v[56:57]
	s_waitcnt lgkmcnt(2)
	v_pk_mul_f32 v[18:19], v[18:19], v[52:53]
	v_pk_fma_f32 v[88:89], v[86:87], v[56:57], v[16:17] op_sel:[0,0,1] op_sel_hi:[1,1,0]
	v_pk_fma_f32 v[16:17], v[86:87], v[56:57], v[16:17] op_sel:[0,0,1] op_sel_hi:[1,1,0] neg_lo:[0,0,1] neg_hi:[0,0,1]
	s_waitcnt lgkmcnt(1)
	v_pk_mul_f32 v[12:13], v[12:13], v[50:51]
	v_mov_b32_e32 v89, v17
	v_pk_fma_f32 v[16:17], v[84:85], v[52:53], v[18:19] op_sel:[0,0,1] op_sel_hi:[1,1,0]
	v_pk_fma_f32 v[18:19], v[84:85], v[52:53], v[18:19] op_sel:[0,0,1] op_sel_hi:[1,1,0] neg_lo:[0,0,1] neg_hi:[0,0,1]
	s_waitcnt lgkmcnt(0)
	v_pk_mul_f32 v[14:15], v[14:15], v[48:49]
	v_mov_b32_e32 v17, v19
	v_pk_fma_f32 v[18:19], v[82:83], v[50:51], v[12:13] op_sel:[0,0,1] op_sel_hi:[1,1,0]
	v_pk_fma_f32 v[12:13], v[82:83], v[50:51], v[12:13] op_sel:[0,0,1] op_sel_hi:[1,1,0] neg_lo:[0,0,1] neg_hi:[0,0,1]
	s_mov_b32 s0, 0x3f737871
	v_mov_b32_e32 v19, v13
	v_pk_fma_f32 v[12:13], v[58:59], v[48:49], v[14:15] op_sel:[0,0,1] op_sel_hi:[1,1,0]
	v_pk_fma_f32 v[14:15], v[58:59], v[48:49], v[14:15] op_sel:[0,0,1] op_sel_hi:[1,1,0] neg_lo:[0,0,1] neg_hi:[0,0,1]
	v_pk_add_f32 v[48:49], v[16:17], v[18:19]
	v_mov_b32_e32 v13, v15
	v_pk_add_f32 v[50:51], v[88:89], v[12:13] neg_lo:[0,1] neg_hi:[0,1]
	v_pk_fma_f32 v[48:49], v[48:49], 0.5, v[46:47] op_sel_hi:[1,0,1] neg_lo:[1,0,0] neg_hi:[1,0,0]
	v_pk_mul_f32 v[52:53], v[50:51], s[0:1] op_sel_hi:[1,0]
	v_pk_add_f32 v[56:57], v[16:17], v[18:19] neg_lo:[0,1] neg_hi:[0,1]
	s_mov_b32 s4, 0x3f167918
	v_pk_add_f32 v[82:83], v[88:89], v[16:17] neg_lo:[0,1] neg_hi:[0,1]
	v_pk_add_f32 v[84:85], v[12:13], v[18:19] neg_lo:[0,1] neg_hi:[0,1]
	v_pk_add_f32 v[14:15], v[46:47], v[88:89]
	v_pk_mul_f32 v[58:59], v[56:57], s[4:5] op_sel_hi:[1,0]
	v_pk_add_f32 v[82:83], v[82:83], v[84:85]
	v_pk_add_f32 v[84:85], v[48:49], v[52:53] op_sel:[0,1] op_sel_hi:[1,0] neg_lo:[0,1] neg_hi:[0,1]
	v_pk_add_f32 v[48:49], v[48:49], v[52:53] op_sel:[0,1] op_sel_hi:[1,0]
	v_pk_add_f32 v[14:15], v[14:15], v[16:17]
	v_pk_add_f32 v[48:49], v[48:49], v[58:59] op_sel:[0,1] op_sel_hi:[1,0]
	v_pk_add_f32 v[52:53], v[84:85], v[58:59] op_sel:[0,1] op_sel_hi:[1,0] neg_lo:[0,1] neg_hi:[0,1]
	v_pk_add_f32 v[14:15], v[14:15], v[18:19]
	s_mov_b32 s6, 0x3e9e377a
	v_mov_b32_e32 v58, v52
	v_mov_b32_e32 v59, v49
	v_pk_add_f32 v[14:15], v[14:15], v[12:13]
	v_pk_fma_f32 v[58:59], v[82:83], s[6:7], v[58:59] op_sel_hi:[1,0,1]
	s_barrier
	ds_write2_b64 v95, v[14:15], v[58:59] offset1:6
	v_pk_add_f32 v[14:15], v[88:89], v[12:13]
	v_pk_add_f32 v[16:17], v[16:17], v[88:89] neg_lo:[0,1] neg_hi:[0,1]
	v_pk_add_f32 v[12:13], v[18:19], v[12:13] neg_lo:[0,1] neg_hi:[0,1]
	v_pk_fma_f32 v[14:15], v[14:15], 0.5, v[46:47] op_sel_hi:[1,0,1] neg_lo:[1,0,0] neg_hi:[1,0,0]
	v_pk_add_f32 v[12:13], v[16:17], v[12:13]
	v_pk_mul_f32 v[16:17], v[56:57], s[0:1] op_sel_hi:[1,0]
	v_pk_mul_f32 v[18:19], v[50:51], s[4:5] op_sel_hi:[1,0]
	v_pk_add_f32 v[46:47], v[14:15], v[16:17] op_sel:[0,1] op_sel_hi:[1,0]
	v_pk_add_f32 v[14:15], v[14:15], v[16:17] op_sel:[0,1] op_sel_hi:[1,0] neg_lo:[0,1] neg_hi:[0,1]
	v_pk_add_f32 v[16:17], v[46:47], v[18:19] op_sel:[0,1] op_sel_hi:[1,0] neg_lo:[0,1] neg_hi:[0,1]
	v_pk_add_f32 v[14:15], v[14:15], v[18:19] op_sel:[0,1] op_sel_hi:[1,0]
	v_mov_b32_e32 v18, v16
	v_mov_b32_e32 v19, v15
	v_mov_b32_e32 v15, v17
	v_pk_fma_f32 v[18:19], v[12:13], s[6:7], v[18:19] op_sel_hi:[1,0,1]
	v_pk_fma_f32 v[12:13], v[12:13], s[6:7], v[14:15] op_sel_hi:[1,0,1]
	v_mov_b32_e32 v49, v53
	ds_write2_b64 v95, v[18:19], v[12:13] offset0:12 offset1:18
	v_pk_fma_f32 v[12:13], v[82:83], s[6:7], v[48:49] op_sel_hi:[1,0,1]
	ds_write_b64 v95, v[12:13] offset:192
	s_and_saveexec_b64 s[16:17], s[2:3]
	s_cbranch_execz .LBB0_29
; %bb.28:
	v_pk_mul_f32 v[14:15], v[10:11], v[6:7] op_sel:[0,1]
	v_pk_mul_f32 v[18:19], v[0:1], v[44:45] op_sel:[0,1]
	v_pk_fma_f32 v[46:47], v[10:11], v[44:45], v[14:15] op_sel:[0,0,1] op_sel_hi:[1,1,0]
	v_pk_fma_f32 v[10:11], v[10:11], v[44:45], v[14:15] op_sel:[0,0,1] op_sel_hi:[1,0,0] neg_lo:[1,0,0] neg_hi:[1,0,0]
	v_pk_mul_f32 v[12:13], v[8:9], v[4:5] op_sel:[0,1]
	v_mov_b32_e32 v47, v11
	v_pk_fma_f32 v[10:11], v[0:1], v[6:7], v[18:19] op_sel:[0,0,1] op_sel_hi:[1,1,0]
	v_pk_fma_f32 v[0:1], v[0:1], v[6:7], v[18:19] op_sel:[0,0,1] op_sel_hi:[1,0,0] neg_lo:[1,0,0] neg_hi:[1,0,0]
	v_pk_mul_f32 v[16:17], v[2:3], v[80:81] op_sel:[0,1]
	v_mov_b32_e32 v11, v1
	v_pk_fma_f32 v[0:1], v[8:9], v[4:5], v[12:13] op_sel:[0,0,1] op_sel_hi:[1,1,0]
	v_pk_fma_f32 v[4:5], v[8:9], v[4:5], v[12:13] op_sel:[0,0,1] op_sel_hi:[1,0,0] neg_lo:[1,0,0] neg_hi:[1,0,0]
	v_pk_add_f32 v[8:9], v[46:47], v[10:11] neg_lo:[0,1] neg_hi:[0,1]
	v_mov_b32_e32 v1, v5
	v_pk_fma_f32 v[4:5], v[2:3], v[80:81], v[16:17] op_sel:[0,0,1] op_sel_hi:[1,1,0]
	v_pk_fma_f32 v[2:3], v[2:3], v[80:81], v[16:17] op_sel:[0,0,1] op_sel_hi:[1,0,0] neg_lo:[1,0,0] neg_hi:[1,0,0]
	v_pk_add_f32 v[12:13], v[0:1], v[46:47] neg_lo:[0,1] neg_hi:[0,1]
	v_mov_b32_e32 v5, v3
	v_pk_add_f32 v[2:3], v[46:47], v[10:11]
	v_pk_add_f32 v[6:7], v[0:1], v[4:5] neg_lo:[0,1] neg_hi:[0,1]
	v_pk_fma_f32 v[2:3], v[2:3], 0.5, v[54:55] op_sel_hi:[1,0,1] neg_lo:[1,0,0] neg_hi:[1,0,0]
	v_pk_add_f32 v[14:15], v[4:5], v[10:11] neg_lo:[0,1] neg_hi:[0,1]
	v_pk_add_f32 v[18:19], v[54:55], v[0:1]
	v_pk_add_f32 v[12:13], v[14:15], v[12:13]
	v_pk_fma_f32 v[14:15], v[6:7], s[0:1], v[2:3] op_sel:[1,0,0] op_sel_hi:[0,0,1]
	v_pk_fma_f32 v[2:3], v[6:7], s[0:1], v[2:3] op_sel:[1,0,0] op_sel_hi:[0,0,1] neg_lo:[1,0,0] neg_hi:[1,0,0]
	v_pk_fma_f32 v[2:3], v[8:9], s[4:5], v[2:3] op_sel:[1,0,0] op_sel_hi:[0,0,1] neg_lo:[1,0,0] neg_hi:[1,0,0]
	v_pk_fma_f32 v[14:15], v[8:9], s[4:5], v[14:15] op_sel:[1,0,0] op_sel_hi:[0,0,1]
	v_pk_add_f32 v[18:19], v[46:47], v[18:19]
	v_mov_b32_e32 v17, v3
	v_pk_add_f32 v[18:19], v[10:11], v[18:19]
	v_mov_b32_e32 v3, v15
	v_lshlrev_b32_e32 v48, 3, v97
	v_pk_add_f32 v[18:19], v[4:5], v[18:19]
	v_pk_fma_f32 v[2:3], v[12:13], s[6:7], v[2:3] op_sel_hi:[1,0,1]
	ds_write2_b64 v48, v[18:19], v[2:3] offset1:6
	v_pk_add_f32 v[2:3], v[4:5], v[0:1]
	v_pk_add_f32 v[0:1], v[46:47], v[0:1] neg_lo:[0,1] neg_hi:[0,1]
	v_pk_fma_f32 v[2:3], v[2:3], 0.5, v[54:55] op_sel_hi:[1,0,1] neg_lo:[1,0,0] neg_hi:[1,0,0]
	v_pk_add_f32 v[4:5], v[10:11], v[4:5] neg_lo:[0,1] neg_hi:[0,1]
	v_mov_b32_e32 v16, v14
	v_pk_add_f32 v[0:1], v[4:5], v[0:1]
	v_pk_fma_f32 v[4:5], v[8:9], s[0:1], v[2:3] op_sel:[1,0,0] op_sel_hi:[0,0,1] neg_lo:[1,0,0] neg_hi:[1,0,0]
	v_pk_fma_f32 v[2:3], v[8:9], s[0:1], v[2:3] op_sel:[1,0,0] op_sel_hi:[0,0,1]
	v_pk_fma_f32 v[2:3], v[6:7], s[4:5], v[2:3] op_sel:[1,0,0] op_sel_hi:[0,0,1] neg_lo:[1,0,0] neg_hi:[1,0,0]
	v_pk_fma_f32 v[4:5], v[6:7], s[4:5], v[4:5] op_sel:[1,0,0] op_sel_hi:[0,0,1]
	v_mov_b32_e32 v6, v4
	v_mov_b32_e32 v7, v3
	;; [unrolled: 1-line block ×3, first 2 shown]
	v_pk_fma_f32 v[6:7], v[0:1], s[6:7], v[6:7] op_sel_hi:[1,0,1]
	v_pk_fma_f32 v[0:1], v[0:1], s[6:7], v[2:3] op_sel_hi:[1,0,1]
	v_pk_fma_f32 v[16:17], v[12:13], s[6:7], v[16:17] op_sel_hi:[1,0,1]
	ds_write2_b64 v48, v[0:1], v[6:7] offset0:12 offset1:18
	ds_write_b64 v48, v[16:17] offset:192
.LBB0_29:
	s_or_b64 exec, exec, s[16:17]
	v_add_u32_e32 v48, 0xc00, v60
	s_waitcnt lgkmcnt(0)
	s_barrier
	ds_read2_b64 v[2:5], v48 offset0:36 offset1:246
	ds_read2_b64 v[6:9], v60 offset1:210
	v_add_u32_e32 v49, 0x1a00, v60
	ds_read2_b64 v[10:13], v49 offset0:8 offset1:218
	ds_read_b64 v[14:15], v60 offset:10080
	v_mov_b32_e32 v18, v29
	s_waitcnt lgkmcnt(3)
	v_pk_mul_f32 v[44:45], v[28:29], v[4:5] op_sel:[0,1] op_sel_hi:[1,0]
	v_pk_mul_f32 v[16:17], v[28:29], v[4:5]
	v_mov_b32_e32 v44, v45
	s_waitcnt lgkmcnt(1)
	v_pk_mul_f32 v[46:47], v[30:31], v[10:11] op_sel:[0,1] op_sel_hi:[1,0]
	v_pk_mul_f32 v[18:19], v[18:19], v[4:5] op_sel:[0,1] op_sel_hi:[1,0]
	v_pk_fma_f32 v[4:5], v[28:29], v[4:5], v[44:45] op_sel:[0,1,0] op_sel_hi:[1,0,1] neg_lo:[0,0,1] neg_hi:[0,0,1]
	v_mov_b32_e32 v44, v31
	v_mov_b32_e32 v46, v47
	v_pk_mul_f32 v[28:29], v[30:31], v[10:11]
	v_pk_mul_f32 v[44:45], v[44:45], v[10:11] op_sel:[0,1] op_sel_hi:[1,0]
	v_pk_fma_f32 v[10:11], v[30:31], v[10:11], v[46:47] op_sel:[0,1,0] op_sel_hi:[1,0,1] neg_lo:[0,0,1] neg_hi:[0,0,1]
	v_pk_mul_f32 v[46:47], v[24:25], v[8:9] op_sel_hi:[1,0]
	v_mov_b32_e32 v30, v9
	v_pk_fma_f32 v[8:9], v[24:25], v[8:9], v[46:47] op_sel:[0,1,1] op_sel_hi:[1,1,0]
	v_pk_fma_f32 v[30:31], v[24:25], v[30:31], v[46:47] op_sel:[0,0,1] op_sel_hi:[1,1,0] neg_lo:[0,0,1] neg_hi:[0,0,1]
	v_mov_b32_e32 v8, v3
	v_pk_mul_f32 v[24:25], v[26:27], v[2:3] op_sel_hi:[1,0]
	v_mov_b32_e32 v31, v9
	v_pk_fma_f32 v[8:9], v[26:27], v[8:9], v[24:25] op_sel:[0,0,1] op_sel_hi:[1,1,0] neg_lo:[0,0,1] neg_hi:[0,0,1]
	v_pk_fma_f32 v[2:3], v[26:27], v[2:3], v[24:25] op_sel:[0,1,1] op_sel_hi:[1,1,0]
	v_pk_mul_f32 v[24:25], v[20:21], v[12:13] op_sel_hi:[1,0]
	v_mov_b32_e32 v2, v13
	v_pk_fma_f32 v[12:13], v[20:21], v[12:13], v[24:25] op_sel:[0,1,1] op_sel_hi:[1,1,0]
	v_mov_b32_e32 v9, v3
	v_pk_fma_f32 v[2:3], v[20:21], v[2:3], v[24:25] op_sel:[0,0,1] op_sel_hi:[1,1,0] neg_lo:[0,0,1] neg_hi:[0,0,1]
	s_waitcnt lgkmcnt(0)
	v_mov_b32_e32 v12, v15
	v_pk_mul_f32 v[20:21], v[22:23], v[14:15] op_sel_hi:[1,0]
	v_mov_b32_e32 v3, v13
	v_pk_fma_f32 v[12:13], v[22:23], v[12:13], v[20:21] op_sel:[0,0,1] op_sel_hi:[1,1,0] neg_lo:[0,0,1] neg_hi:[0,0,1]
	v_pk_fma_f32 v[14:15], v[22:23], v[14:15], v[20:21] op_sel:[0,1,1] op_sel_hi:[1,1,0]
	v_mov_b32_e32 v29, v30
	v_mov_b32_e32 v13, v15
	;; [unrolled: 1-line block ×5, first 2 shown]
	v_pk_add_f32 v[14:15], v[30:31], v[12:13]
	v_pk_add_f32 v[20:21], v[30:31], v[12:13] neg_lo:[0,1] neg_hi:[0,1]
	v_pk_add_f32 v[22:23], v[8:9], v[2:3]
	v_pk_add_f32 v[24:25], v[8:9], v[2:3] neg_lo:[0,1] neg_hi:[0,1]
	v_pk_add_f32 v[12:13], v[28:29], v[44:45]
	v_pk_add_f32 v[2:3], v[16:17], v[18:19]
	v_mov_b32_e32 v11, v12
	v_mov_b32_e32 v5, v2
	v_pk_add_f32 v[8:9], v[10:11], v[4:5] neg_lo:[0,1] neg_hi:[0,1]
	v_mov_b32_e32 v28, v23
	v_mov_b32_e32 v29, v4
	;; [unrolled: 1-line block ×4, first 2 shown]
	v_pk_add_f32 v[4:5], v[28:29], v[4:5]
	v_pk_add_f32 v[10:11], v[2:3], v[12:13]
	v_mov_b32_e32 v16, v8
	v_mov_b32_e32 v17, v21
	;; [unrolled: 1-line block ×4, first 2 shown]
	s_mov_b32 s6, 0x3f08b237
	v_mov_b32_e32 v12, v10
	v_mov_b32_e32 v29, v5
	s_mov_b32 s18, 0x3d64c772
	v_pk_add_f32 v[16:17], v[16:17], v[18:19] neg_lo:[0,1] neg_hi:[0,1]
	s_mov_b32 s7, 0xbeae86e6
	v_mov_b32_e32 v18, v20
	v_mov_b32_e32 v26, v8
	;; [unrolled: 1-line block ×3, first 2 shown]
	v_pk_add_f32 v[28:29], v[12:13], v[28:29] neg_lo:[0,1] neg_hi:[0,1]
	v_mov_b32_e32 v30, v15
	v_mov_b32_e32 v31, v5
	;; [unrolled: 1-line block ×3, first 2 shown]
	v_pk_add_f32 v[4:5], v[4:5], v[10:11]
	s_mov_b32 s19, 0x3f4a47b2
	v_pk_mul_f32 v[16:17], v[16:17], s[6:7]
	v_pk_add_f32 v[18:19], v[18:19], v[26:27] neg_lo:[0,1] neg_hi:[0,1]
	s_mov_b32 s2, s7
	s_mov_b32 s3, s6
	v_pk_add_f32 v[8:9], v[8:9], v[24:25]
	v_pk_add_f32 v[30:31], v[30:31], v[2:3] neg_lo:[0,1] neg_hi:[0,1]
	v_pk_add_f32 v[6:7], v[6:7], v[4:5]
	s_mov_b32 s16, 0x3f955555
	v_pk_mul_f32 v[10:11], v[28:29], s[18:19]
	s_mov_b32 s20, s19
	s_mov_b32 s21, s18
	v_pk_mul_f32 v[26:27], v[18:19], s[2:3]
	v_pk_add_f32 v[8:9], v[8:9], v[20:21]
	s_mov_b32 s0, 0xbee1c552
	v_pk_mul_f32 v[28:29], v[30:31], s[20:21]
	v_pk_fma_f32 v[4:5], v[4:5], s[16:17], v[6:7] op_sel_hi:[1,0,1] neg_lo:[1,0,0] neg_hi:[1,0,0]
	v_pk_fma_f32 v[30:31], v[30:31], s[20:21], v[10:11]
	v_pk_fma_f32 v[18:19], v[18:19], s[2:3], v[16:17]
	v_pk_add_f32 v[30:31], v[30:31], v[4:5]
	v_pk_fma_f32 v[18:19], v[8:9], s[0:1], v[18:19] op_sel_hi:[1,0,1]
	v_mov_b32_e32 v2, v23
	v_pk_add_f32 v[44:45], v[30:31], v[18:19]
	v_pk_add_f32 v[18:19], v[30:31], v[18:19] neg_lo:[0,1] neg_hi:[0,1]
	v_mov_b32_e32 v30, v44
	v_mov_b32_e32 v31, v19
	;; [unrolled: 1-line block ×4, first 2 shown]
	s_barrier
	ds_write2_b64 v96, v[6:7], v[30:31] offset1:30
	v_pk_add_f32 v[6:7], v[24:25], v[20:21] neg_lo:[0,1] neg_hi:[0,1]
	s_mov_b32 s4, 0xbf5ff5aa
	v_pk_add_f32 v[2:3], v[2:3], v[12:13] neg_lo:[0,1] neg_hi:[0,1]
	s_mov_b32 s10, 0x3f3bfb3b
	v_mov_b32_e32 v12, v28
	v_mov_b32_e32 v13, v11
	;; [unrolled: 1-line block ×6, first 2 shown]
	v_pk_fma_f32 v[12:13], v[2:3], s[10:11], v[12:13] op_sel_hi:[1,0,1] neg_lo:[1,0,1] neg_hi:[1,0,1]
	v_pk_fma_f32 v[14:15], v[6:7], s[4:5], v[14:15] op_sel_hi:[1,0,1] neg_lo:[1,0,1] neg_hi:[1,0,1]
	;; [unrolled: 1-line block ×4, first 2 shown]
	v_pk_add_f32 v[12:13], v[12:13], v[4:5]
	v_pk_fma_f32 v[14:15], v[8:9], s[0:1], v[14:15] op_sel_hi:[1,0,1]
	v_pk_add_f32 v[2:3], v[2:3], v[4:5]
	v_pk_fma_f32 v[4:5], v[8:9], s[0:1], v[6:7] op_sel_hi:[1,0,1]
	v_pk_add_f32 v[20:21], v[12:13], v[14:15]
	v_pk_add_f32 v[12:13], v[12:13], v[14:15] neg_lo:[0,1] neg_hi:[0,1]
	v_pk_add_f32 v[6:7], v[2:3], v[4:5] neg_lo:[0,1] neg_hi:[0,1]
	v_pk_add_f32 v[2:3], v[2:3], v[4:5]
	v_mov_b32_e32 v14, v20
	v_mov_b32_e32 v15, v13
	;; [unrolled: 1-line block ×7, first 2 shown]
	ds_write2_b64 v96, v[14:15], v[4:5] offset0:60 offset1:90
	ds_write2_b64 v96, v[2:3], v[12:13] offset0:120 offset1:150
	ds_write_b64 v96, v[18:19] offset:1440
	s_waitcnt lgkmcnt(0)
	s_barrier
	ds_read2_b64 v[2:5], v48 offset0:36 offset1:246
	ds_read2_b64 v[6:9], v60 offset1:210
	ds_read2_b64 v[10:13], v49 offset0:8 offset1:218
	ds_read_b64 v[16:17], v60 offset:10080
	v_mov_b32_e32 v20, v41
	v_mov_b32_e32 v24, v43
	s_waitcnt lgkmcnt(2)
	v_pk_mul_f32 v[28:29], v[36:37], v[8:9] op_sel_hi:[1,0]
	v_pk_mul_f32 v[22:23], v[40:41], v[4:5] op_sel:[0,1] op_sel_hi:[1,0]
	s_waitcnt lgkmcnt(1)
	v_pk_mul_f32 v[26:27], v[42:43], v[10:11] op_sel:[0,1] op_sel_hi:[1,0]
	v_mov_b32_e32 v22, v23
	v_mov_b32_e32 v26, v27
	v_pk_mul_f32 v[18:19], v[40:41], v[4:5]
	v_pk_mul_f32 v[20:21], v[20:21], v[4:5] op_sel:[0,1] op_sel_hi:[1,0]
	v_pk_fma_f32 v[4:5], v[40:41], v[4:5], v[22:23] op_sel:[0,1,0] op_sel_hi:[1,0,1] neg_lo:[0,0,1] neg_hi:[0,0,1]
	v_pk_mul_f32 v[22:23], v[42:43], v[10:11]
	v_pk_mul_f32 v[24:25], v[24:25], v[10:11] op_sel:[0,1] op_sel_hi:[1,0]
	v_pk_fma_f32 v[10:11], v[42:43], v[10:11], v[26:27] op_sel:[0,1,0] op_sel_hi:[1,0,1] neg_lo:[0,0,1] neg_hi:[0,0,1]
	v_mov_b32_e32 v26, v9
	v_pk_fma_f32 v[8:9], v[36:37], v[8:9], v[28:29] op_sel:[0,1,1] op_sel_hi:[1,1,0]
	v_pk_fma_f32 v[26:27], v[36:37], v[26:27], v[28:29] op_sel:[0,0,1] op_sel_hi:[1,1,0] neg_lo:[0,0,1] neg_hi:[0,0,1]
	v_mov_b32_e32 v8, v3
	v_pk_mul_f32 v[28:29], v[38:39], v[2:3] op_sel_hi:[1,0]
	v_mov_b32_e32 v27, v9
	v_pk_fma_f32 v[8:9], v[38:39], v[8:9], v[28:29] op_sel:[0,0,1] op_sel_hi:[1,1,0] neg_lo:[0,0,1] neg_hi:[0,0,1]
	v_pk_fma_f32 v[2:3], v[38:39], v[2:3], v[28:29] op_sel:[0,1,1] op_sel_hi:[1,1,0]
	v_pk_mul_f32 v[28:29], v[32:33], v[12:13] op_sel_hi:[1,0]
	v_mov_b32_e32 v2, v13
	v_pk_fma_f32 v[12:13], v[32:33], v[12:13], v[28:29] op_sel:[0,1,1] op_sel_hi:[1,1,0]
	v_mov_b32_e32 v9, v3
	v_pk_fma_f32 v[2:3], v[32:33], v[2:3], v[28:29] op_sel:[0,0,1] op_sel_hi:[1,1,0] neg_lo:[0,0,1] neg_hi:[0,0,1]
	s_waitcnt lgkmcnt(0)
	v_mov_b32_e32 v12, v17
	v_pk_mul_f32 v[28:29], v[34:35], v[16:17] op_sel_hi:[1,0]
	v_mov_b32_e32 v3, v13
	v_pk_fma_f32 v[12:13], v[34:35], v[12:13], v[28:29] op_sel:[0,0,1] op_sel_hi:[1,1,0] neg_lo:[0,0,1] neg_hi:[0,0,1]
	v_pk_fma_f32 v[16:17], v[34:35], v[16:17], v[28:29] op_sel:[0,1,1] op_sel_hi:[1,1,0]
	v_mov_b32_e32 v23, v26
	v_mov_b32_e32 v13, v17
	;; [unrolled: 1-line block ×5, first 2 shown]
	v_pk_add_f32 v[16:17], v[26:27], v[12:13]
	v_pk_add_f32 v[28:29], v[26:27], v[12:13] neg_lo:[0,1] neg_hi:[0,1]
	v_pk_add_f32 v[30:31], v[8:9], v[2:3]
	v_pk_add_f32 v[32:33], v[8:9], v[2:3] neg_lo:[0,1] neg_hi:[0,1]
	v_pk_add_f32 v[12:13], v[22:23], v[24:25]
	v_pk_add_f32 v[2:3], v[18:19], v[20:21]
	v_mov_b32_e32 v11, v12
	v_mov_b32_e32 v5, v2
	v_pk_add_f32 v[8:9], v[10:11], v[4:5] neg_lo:[0,1] neg_hi:[0,1]
	v_mov_b32_e32 v24, v31
	v_mov_b32_e32 v25, v4
	;; [unrolled: 1-line block ×4, first 2 shown]
	v_pk_add_f32 v[4:5], v[24:25], v[4:5]
	v_pk_add_f32 v[10:11], v[2:3], v[12:13]
	v_mov_b32_e32 v18, v8
	v_mov_b32_e32 v19, v29
	;; [unrolled: 1-line block ×6, first 2 shown]
	v_pk_add_f32 v[18:19], v[18:19], v[20:21] neg_lo:[0,1] neg_hi:[0,1]
	v_mov_b32_e32 v20, v28
	v_mov_b32_e32 v22, v8
	;; [unrolled: 1-line block ×3, first 2 shown]
	v_pk_add_f32 v[24:25], v[12:13], v[24:25] neg_lo:[0,1] neg_hi:[0,1]
	v_mov_b32_e32 v26, v17
	v_mov_b32_e32 v27, v5
	;; [unrolled: 1-line block ×3, first 2 shown]
	v_pk_add_f32 v[4:5], v[4:5], v[10:11]
	v_pk_mul_f32 v[18:19], v[18:19], s[6:7]
	v_pk_add_f32 v[20:21], v[20:21], v[22:23] neg_lo:[0,1] neg_hi:[0,1]
	v_pk_add_f32 v[8:9], v[8:9], v[32:33]
	v_pk_add_f32 v[26:27], v[26:27], v[2:3] neg_lo:[0,1] neg_hi:[0,1]
	v_pk_add_f32 v[6:7], v[6:7], v[4:5]
	v_pk_mul_f32 v[10:11], v[24:25], s[18:19]
	v_pk_mul_f32 v[22:23], v[20:21], s[2:3]
	v_pk_add_f32 v[8:9], v[8:9], v[28:29]
	v_pk_mul_f32 v[24:25], v[26:27], s[20:21]
	v_pk_fma_f32 v[4:5], v[4:5], s[16:17], v[6:7] op_sel_hi:[1,0,1] neg_lo:[1,0,0] neg_hi:[1,0,0]
	v_pk_fma_f32 v[26:27], v[26:27], s[20:21], v[10:11]
	v_pk_fma_f32 v[20:21], v[20:21], s[2:3], v[18:19]
	v_pk_add_f32 v[26:27], v[26:27], v[4:5]
	v_pk_fma_f32 v[20:21], v[8:9], s[0:1], v[20:21] op_sel_hi:[1,0,1]
	v_mov_b32_e32 v2, v31
	v_pk_add_f32 v[34:35], v[26:27], v[20:21]
	v_pk_add_f32 v[20:21], v[26:27], v[20:21] neg_lo:[0,1] neg_hi:[0,1]
	v_mov_b32_e32 v26, v34
	v_mov_b32_e32 v27, v21
	;; [unrolled: 1-line block ×3, first 2 shown]
	ds_write2_b64 v60, v[6:7], v[26:27] offset1:210
	v_pk_add_f32 v[6:7], v[32:33], v[28:29] neg_lo:[0,1] neg_hi:[0,1]
	v_pk_add_f32 v[2:3], v[2:3], v[12:13] neg_lo:[0,1] neg_hi:[0,1]
	v_mov_b32_e32 v12, v24
	v_mov_b32_e32 v13, v11
	;; [unrolled: 1-line block ×6, first 2 shown]
	v_pk_fma_f32 v[12:13], v[2:3], s[10:11], v[12:13] op_sel_hi:[1,0,1] neg_lo:[1,0,1] neg_hi:[1,0,1]
	v_pk_fma_f32 v[16:17], v[6:7], s[4:5], v[16:17] op_sel_hi:[1,0,1] neg_lo:[1,0,1] neg_hi:[1,0,1]
	v_pk_fma_f32 v[2:3], v[2:3], s[10:11], v[10:11] op_sel_hi:[1,0,1] neg_lo:[0,0,1] neg_hi:[0,0,1]
	v_pk_fma_f32 v[6:7], v[6:7], s[4:5], v[18:19] op_sel_hi:[1,0,1] neg_lo:[0,0,1] neg_hi:[0,0,1]
	v_pk_add_f32 v[12:13], v[12:13], v[4:5]
	v_pk_fma_f32 v[16:17], v[8:9], s[0:1], v[16:17] op_sel_hi:[1,0,1]
	v_pk_add_f32 v[2:3], v[2:3], v[4:5]
	v_pk_fma_f32 v[4:5], v[8:9], s[0:1], v[6:7] op_sel_hi:[1,0,1]
	v_pk_add_f32 v[26:27], v[12:13], v[16:17]
	v_pk_add_f32 v[12:13], v[12:13], v[16:17] neg_lo:[0,1] neg_hi:[0,1]
	v_pk_add_f32 v[6:7], v[2:3], v[4:5] neg_lo:[0,1] neg_hi:[0,1]
	v_pk_add_f32 v[2:3], v[2:3], v[4:5]
	v_mov_b32_e32 v16, v26
	v_mov_b32_e32 v17, v13
	;; [unrolled: 1-line block ×7, first 2 shown]
	ds_write2_b64 v48, v[16:17], v[4:5] offset0:36 offset1:246
	ds_write2_b64 v49, v[2:3], v[12:13] offset0:8 offset1:218
	ds_write_b64 v60, v[20:21] offset:10080
	s_waitcnt lgkmcnt(0)
	s_barrier
	ds_read2_b64 v[2:5], v60 offset1:210
	v_mad_u64_u32 v[14:15], s[22:23], s14, v70, 0
	v_mov_b32_e32 v6, v15
	v_mad_u64_u32 v[6:7], s[0:1], s15, v70, v[6:7]
	v_mov_b32_e32 v15, v6
	s_waitcnt lgkmcnt(0)
	v_mul_f32_e32 v6, v79, v3
	v_fmac_f32_e32 v6, v78, v2
	v_mul_f32_e32 v2, v79, v2
	s_mov_b32 s0, 0x3adcd25f
	v_fma_f32 v2, v78, v3, -v2
	s_mov_b32 s1, 0x3f464a89
	v_cvt_f64_f32_e32 v[2:3], v2
	v_cvt_f64_f32_e32 v[6:7], v6
	v_mul_f64 v[2:3], v[2:3], s[0:1]
	v_mul_f64 v[6:7], v[6:7], s[0:1]
	v_cvt_f32_f64_e32 v11, v[2:3]
	v_mad_u64_u32 v[2:3], s[2:3], s12, v64, 0
	v_cvt_f32_f64_e32 v10, v[6:7]
	v_mov_b32_e32 v6, v3
	v_add_u32_e32 v3, 0x1600, v60
	v_mad_u64_u32 v[12:13], s[2:3], s13, v64, v[6:7]
	ds_read2_b64 v[6:9], v3 offset0:31 offset1:241
	v_mov_b32_e32 v1, s11
	v_mov_b32_e32 v3, v12
	v_lshl_add_u64 v[0:1], v[14:15], 3, v[0:1]
	v_lshl_add_u64 v[0:1], v[2:3], 3, v[0:1]
	s_waitcnt lgkmcnt(0)
	v_mul_f32_e32 v2, v77, v7
	v_fmac_f32_e32 v2, v76, v6
	v_cvt_f64_f32_e32 v[2:3], v2
	v_mul_f64 v[2:3], v[2:3], s[0:1]
	v_cvt_f32_f64_e32 v2, v[2:3]
	v_mul_f32_e32 v3, v77, v6
	v_fma_f32 v3, v76, v7, -v3
	s_mul_i32 s2, s13, 0x2df
	s_mul_hi_u32 s3, s12, 0x2df
	v_cvt_f64_f32_e32 v[6:7], v3
	s_add_i32 s3, s3, s2
	s_mul_i32 s2, s12, 0x2df
	v_mul_f64 v[6:7], v[6:7], s[0:1]
	s_lshl_b64 s[6:7], s[2:3], 3
	global_store_dwordx2 v[0:1], v[10:11], off
	v_cvt_f32_f64_e32 v3, v[6:7]
	v_lshl_add_u64 v[0:1], v[0:1], 0, s[6:7]
	global_store_dwordx2 v[0:1], v[2:3], off
	v_mul_f32_e32 v2, v75, v5
	v_fmac_f32_e32 v2, v74, v4
	v_cvt_f64_f32_e32 v[2:3], v2
	v_mul_f64 v[2:3], v[2:3], s[0:1]
	v_cvt_f32_f64_e32 v2, v[2:3]
	v_mul_f32_e32 v3, v75, v4
	s_mul_hi_u32 s5, s12, 0xfffffdf3
	v_fma_f32 v3, v74, v5, -v3
	s_mul_i32 s4, s13, 0xfffffdf3
	s_sub_i32 s5, s5, s12
	v_cvt_f64_f32_e32 v[4:5], v3
	s_add_i32 s5, s5, s4
	s_mul_i32 s4, s12, 0xfffffdf3
	v_mul_f64 v[4:5], v[4:5], s[0:1]
	s_lshl_b64 s[10:11], s[4:5], 3
	v_cvt_f32_f64_e32 v3, v[4:5]
	v_lshl_add_u64 v[0:1], v[0:1], 0, s[10:11]
	global_store_dwordx2 v[0:1], v[2:3], off
	v_mul_f32_e32 v2, v73, v9
	v_fmac_f32_e32 v2, v72, v8
	v_cvt_f64_f32_e32 v[2:3], v2
	v_mul_f64 v[2:3], v[2:3], s[0:1]
	v_cvt_f32_f64_e32 v2, v[2:3]
	v_mul_f32_e32 v3, v73, v8
	ds_read_b64 v[6:7], v60 offset:3360
	v_fma_f32 v3, v72, v9, -v3
	v_cvt_f64_f32_e32 v[4:5], v3
	v_mul_f64 v[4:5], v[4:5], s[0:1]
	v_cvt_f32_f64_e32 v3, v[4:5]
	v_lshl_add_u64 v[0:1], v[0:1], 0, s[6:7]
	global_store_dwordx2 v[0:1], v[2:3], off
	ds_read_b64 v[2:3], v60 offset:9240
	s_waitcnt lgkmcnt(1)
	v_mul_f32_e32 v4, v67, v7
	v_fmac_f32_e32 v4, v66, v6
	v_cvt_f64_f32_e32 v[4:5], v4
	v_mul_f64 v[4:5], v[4:5], s[0:1]
	v_cvt_f32_f64_e32 v4, v[4:5]
	v_mul_f32_e32 v5, v67, v6
	v_fma_f32 v5, v66, v7, -v5
	v_cvt_f64_f32_e32 v[6:7], v5
	v_mul_f64 v[6:7], v[6:7], s[0:1]
	v_cvt_f32_f64_e32 v5, v[6:7]
	v_lshl_add_u64 v[0:1], v[0:1], 0, s[10:11]
	global_store_dwordx2 v[0:1], v[4:5], off
	s_waitcnt lgkmcnt(0)
	v_mul_f32_e32 v4, v69, v3
	v_fmac_f32_e32 v4, v68, v2
	v_mul_f32_e32 v2, v69, v2
	v_fma_f32 v2, v68, v3, -v2
	v_cvt_f64_f32_e32 v[4:5], v4
	v_cvt_f64_f32_e32 v[2:3], v2
	v_mul_f64 v[4:5], v[4:5], s[0:1]
	v_mul_f64 v[2:3], v[2:3], s[0:1]
	v_cvt_f32_f64_e32 v4, v[4:5]
	v_cvt_f32_f64_e32 v5, v[2:3]
	v_lshl_add_u64 v[0:1], v[0:1], 0, s[6:7]
	global_store_dwordx2 v[0:1], v[4:5], off
	s_and_b64 exec, exec, s[8:9]
	s_cbranch_execz .LBB0_31
; %bb.30:
	v_add_co_u32_e32 v2, vcc, 0x1000, v62
	s_movk_i32 s6, 0x2000
	s_nop 0
	v_addc_co_u32_e32 v3, vcc, 0, v63, vcc
	v_add_co_u32_e32 v4, vcc, s6, v62
	global_load_dwordx2 v[2:3], v[2:3], off offset:944
	s_nop 0
	v_addc_co_u32_e32 v5, vcc, 0, v63, vcc
	global_load_dwordx2 v[4:5], v[4:5], off offset:2728
	ds_read_b64 v[6:7], v60 offset:5040
	ds_read_b64 v[8:9], v60 offset:10920
	v_lshl_add_u64 v[0:1], s[4:5], 3, v[0:1]
	v_lshl_add_u64 v[10:11], s[2:3], 3, v[0:1]
	s_waitcnt vmcnt(1) lgkmcnt(1)
	v_mul_f32_e32 v12, v7, v3
	v_mul_f32_e32 v3, v6, v3
	v_fmac_f32_e32 v12, v6, v2
	s_waitcnt vmcnt(0) lgkmcnt(0)
	v_mul_f32_e32 v13, v9, v5
	v_mul_f32_e32 v5, v8, v5
	v_fma_f32 v6, v2, v7, -v3
	v_fmac_f32_e32 v13, v8, v4
	v_fma_f32 v8, v4, v9, -v5
	v_cvt_f64_f32_e32 v[2:3], v12
	v_cvt_f64_f32_e32 v[4:5], v6
	;; [unrolled: 1-line block ×4, first 2 shown]
	v_mul_f64 v[2:3], v[2:3], s[0:1]
	v_mul_f64 v[4:5], v[4:5], s[0:1]
	;; [unrolled: 1-line block ×4, first 2 shown]
	v_cvt_f32_f64_e32 v2, v[2:3]
	v_cvt_f32_f64_e32 v3, v[4:5]
	;; [unrolled: 1-line block ×4, first 2 shown]
	global_store_dwordx2 v[0:1], v[2:3], off
	global_store_dwordx2 v[10:11], v[4:5], off
.LBB0_31:
	s_endpgm
	.section	.rodata,"a",@progbits
	.p2align	6, 0x0
	.amdhsa_kernel bluestein_single_fwd_len1470_dim1_sp_op_CI_CI
		.amdhsa_group_segment_fixed_size 11760
		.amdhsa_private_segment_fixed_size 0
		.amdhsa_kernarg_size 104
		.amdhsa_user_sgpr_count 2
		.amdhsa_user_sgpr_dispatch_ptr 0
		.amdhsa_user_sgpr_queue_ptr 0
		.amdhsa_user_sgpr_kernarg_segment_ptr 1
		.amdhsa_user_sgpr_dispatch_id 0
		.amdhsa_user_sgpr_kernarg_preload_length 0
		.amdhsa_user_sgpr_kernarg_preload_offset 0
		.amdhsa_user_sgpr_private_segment_size 0
		.amdhsa_uses_dynamic_stack 0
		.amdhsa_enable_private_segment 0
		.amdhsa_system_sgpr_workgroup_id_x 1
		.amdhsa_system_sgpr_workgroup_id_y 0
		.amdhsa_system_sgpr_workgroup_id_z 0
		.amdhsa_system_sgpr_workgroup_info 0
		.amdhsa_system_vgpr_workitem_id 0
		.amdhsa_next_free_vgpr 112
		.amdhsa_next_free_sgpr 36
		.amdhsa_accum_offset 112
		.amdhsa_reserve_vcc 1
		.amdhsa_float_round_mode_32 0
		.amdhsa_float_round_mode_16_64 0
		.amdhsa_float_denorm_mode_32 3
		.amdhsa_float_denorm_mode_16_64 3
		.amdhsa_dx10_clamp 1
		.amdhsa_ieee_mode 1
		.amdhsa_fp16_overflow 0
		.amdhsa_tg_split 0
		.amdhsa_exception_fp_ieee_invalid_op 0
		.amdhsa_exception_fp_denorm_src 0
		.amdhsa_exception_fp_ieee_div_zero 0
		.amdhsa_exception_fp_ieee_overflow 0
		.amdhsa_exception_fp_ieee_underflow 0
		.amdhsa_exception_fp_ieee_inexact 0
		.amdhsa_exception_int_div_zero 0
	.end_amdhsa_kernel
	.text
.Lfunc_end0:
	.size	bluestein_single_fwd_len1470_dim1_sp_op_CI_CI, .Lfunc_end0-bluestein_single_fwd_len1470_dim1_sp_op_CI_CI
                                        ; -- End function
	.section	.AMDGPU.csdata,"",@progbits
; Kernel info:
; codeLenInByte = 9440
; NumSgprs: 42
; NumVgprs: 112
; NumAgprs: 0
; TotalNumVgprs: 112
; ScratchSize: 0
; MemoryBound: 0
; FloatMode: 240
; IeeeMode: 1
; LDSByteSize: 11760 bytes/workgroup (compile time only)
; SGPRBlocks: 5
; VGPRBlocks: 13
; NumSGPRsForWavesPerEU: 42
; NumVGPRsForWavesPerEU: 112
; AccumOffset: 112
; Occupancy: 4
; WaveLimiterHint : 1
; COMPUTE_PGM_RSRC2:SCRATCH_EN: 0
; COMPUTE_PGM_RSRC2:USER_SGPR: 2
; COMPUTE_PGM_RSRC2:TRAP_HANDLER: 0
; COMPUTE_PGM_RSRC2:TGID_X_EN: 1
; COMPUTE_PGM_RSRC2:TGID_Y_EN: 0
; COMPUTE_PGM_RSRC2:TGID_Z_EN: 0
; COMPUTE_PGM_RSRC2:TIDIG_COMP_CNT: 0
; COMPUTE_PGM_RSRC3_GFX90A:ACCUM_OFFSET: 27
; COMPUTE_PGM_RSRC3_GFX90A:TG_SPLIT: 0
	.text
	.p2alignl 6, 3212836864
	.fill 256, 4, 3212836864
	.type	__hip_cuid_764e9cc0504d7f3e,@object ; @__hip_cuid_764e9cc0504d7f3e
	.section	.bss,"aw",@nobits
	.globl	__hip_cuid_764e9cc0504d7f3e
__hip_cuid_764e9cc0504d7f3e:
	.byte	0                               ; 0x0
	.size	__hip_cuid_764e9cc0504d7f3e, 1

	.ident	"AMD clang version 19.0.0git (https://github.com/RadeonOpenCompute/llvm-project roc-6.4.0 25133 c7fe45cf4b819c5991fe208aaa96edf142730f1d)"
	.section	".note.GNU-stack","",@progbits
	.addrsig
	.addrsig_sym __hip_cuid_764e9cc0504d7f3e
	.amdgpu_metadata
---
amdhsa.kernels:
  - .agpr_count:     0
    .args:
      - .actual_access:  read_only
        .address_space:  global
        .offset:         0
        .size:           8
        .value_kind:     global_buffer
      - .actual_access:  read_only
        .address_space:  global
        .offset:         8
        .size:           8
        .value_kind:     global_buffer
      - .actual_access:  read_only
        .address_space:  global
        .offset:         16
        .size:           8
        .value_kind:     global_buffer
      - .actual_access:  read_only
        .address_space:  global
        .offset:         24
        .size:           8
        .value_kind:     global_buffer
      - .actual_access:  read_only
        .address_space:  global
        .offset:         32
        .size:           8
        .value_kind:     global_buffer
      - .offset:         40
        .size:           8
        .value_kind:     by_value
      - .address_space:  global
        .offset:         48
        .size:           8
        .value_kind:     global_buffer
      - .address_space:  global
        .offset:         56
        .size:           8
        .value_kind:     global_buffer
      - .address_space:  global
        .offset:         64
        .size:           8
        .value_kind:     global_buffer
      - .address_space:  global
        .offset:         72
        .size:           8
        .value_kind:     global_buffer
      - .offset:         80
        .size:           4
        .value_kind:     by_value
      - .address_space:  global
        .offset:         88
        .size:           8
        .value_kind:     global_buffer
      - .address_space:  global
        .offset:         96
        .size:           8
        .value_kind:     global_buffer
    .group_segment_fixed_size: 11760
    .kernarg_segment_align: 8
    .kernarg_segment_size: 104
    .language:       OpenCL C
    .language_version:
      - 2
      - 0
    .max_flat_workgroup_size: 210
    .name:           bluestein_single_fwd_len1470_dim1_sp_op_CI_CI
    .private_segment_fixed_size: 0
    .sgpr_count:     42
    .sgpr_spill_count: 0
    .symbol:         bluestein_single_fwd_len1470_dim1_sp_op_CI_CI.kd
    .uniform_work_group_size: 1
    .uses_dynamic_stack: false
    .vgpr_count:     112
    .vgpr_spill_count: 0
    .wavefront_size: 64
amdhsa.target:   amdgcn-amd-amdhsa--gfx950
amdhsa.version:
  - 1
  - 2
...

	.end_amdgpu_metadata
